;; amdgpu-corpus repo=ROCm/rocFFT kind=compiled arch=gfx906 opt=O3
	.text
	.amdgcn_target "amdgcn-amd-amdhsa--gfx906"
	.amdhsa_code_object_version 6
	.protected	fft_rtc_back_len924_factors_2_2_3_7_11_wgs_44_tpt_44_halfLds_sp_op_CI_CI_unitstride_sbrr_dirReg ; -- Begin function fft_rtc_back_len924_factors_2_2_3_7_11_wgs_44_tpt_44_halfLds_sp_op_CI_CI_unitstride_sbrr_dirReg
	.globl	fft_rtc_back_len924_factors_2_2_3_7_11_wgs_44_tpt_44_halfLds_sp_op_CI_CI_unitstride_sbrr_dirReg
	.p2align	8
	.type	fft_rtc_back_len924_factors_2_2_3_7_11_wgs_44_tpt_44_halfLds_sp_op_CI_CI_unitstride_sbrr_dirReg,@function
fft_rtc_back_len924_factors_2_2_3_7_11_wgs_44_tpt_44_halfLds_sp_op_CI_CI_unitstride_sbrr_dirReg: ; @fft_rtc_back_len924_factors_2_2_3_7_11_wgs_44_tpt_44_halfLds_sp_op_CI_CI_unitstride_sbrr_dirReg
; %bb.0:
	s_load_dwordx4 s[12:15], s[4:5], 0x58
	s_load_dwordx4 s[8:11], s[4:5], 0x0
	;; [unrolled: 1-line block ×3, first 2 shown]
	v_mul_u32_u24_e32 v1, 0x5d2, v0
	v_mov_b32_e32 v7, 0
	v_mov_b32_e32 v5, 0
	s_waitcnt lgkmcnt(0)
	v_cmp_lt_u64_e64 s[0:1], s[10:11], 2
	v_add_u32_sdwa v9, s6, v1 dst_sel:DWORD dst_unused:UNUSED_PAD src0_sel:DWORD src1_sel:WORD_1
	v_mov_b32_e32 v10, v7
	s_and_b64 vcc, exec, s[0:1]
	v_mov_b32_e32 v6, 0
	s_cbranch_vccnz .LBB0_8
; %bb.1:
	s_load_dwordx2 s[0:1], s[4:5], 0x10
	s_add_u32 s2, s18, 8
	s_addc_u32 s3, s19, 0
	s_add_u32 s6, s16, 8
	s_addc_u32 s7, s17, 0
	v_mov_b32_e32 v5, 0
	s_waitcnt lgkmcnt(0)
	s_add_u32 s20, s0, 8
	v_mov_b32_e32 v6, 0
	v_mov_b32_e32 v1, v5
	s_addc_u32 s21, s1, 0
	s_mov_b64 s[22:23], 1
	v_mov_b32_e32 v2, v6
.LBB0_2:                                ; =>This Inner Loop Header: Depth=1
	s_load_dwordx2 s[24:25], s[20:21], 0x0
                                        ; implicit-def: $vgpr3_vgpr4
	s_waitcnt lgkmcnt(0)
	v_or_b32_e32 v8, s25, v10
	v_cmp_ne_u64_e32 vcc, 0, v[7:8]
	s_and_saveexec_b64 s[0:1], vcc
	s_xor_b64 s[26:27], exec, s[0:1]
	s_cbranch_execz .LBB0_4
; %bb.3:                                ;   in Loop: Header=BB0_2 Depth=1
	v_cvt_f32_u32_e32 v3, s24
	v_cvt_f32_u32_e32 v4, s25
	s_sub_u32 s0, 0, s24
	s_subb_u32 s1, 0, s25
	v_mac_f32_e32 v3, 0x4f800000, v4
	v_rcp_f32_e32 v3, v3
	v_mul_f32_e32 v3, 0x5f7ffffc, v3
	v_mul_f32_e32 v4, 0x2f800000, v3
	v_trunc_f32_e32 v4, v4
	v_mac_f32_e32 v3, 0xcf800000, v4
	v_cvt_u32_f32_e32 v4, v4
	v_cvt_u32_f32_e32 v3, v3
	v_mul_lo_u32 v8, s0, v4
	v_mul_hi_u32 v11, s0, v3
	v_mul_lo_u32 v13, s1, v3
	v_mul_lo_u32 v12, s0, v3
	v_add_u32_e32 v8, v11, v8
	v_add_u32_e32 v8, v8, v13
	v_mul_hi_u32 v11, v3, v12
	v_mul_lo_u32 v13, v3, v8
	v_mul_hi_u32 v15, v3, v8
	v_mul_hi_u32 v14, v4, v12
	v_mul_lo_u32 v12, v4, v12
	v_mul_hi_u32 v16, v4, v8
	v_add_co_u32_e32 v11, vcc, v11, v13
	v_addc_co_u32_e32 v13, vcc, 0, v15, vcc
	v_mul_lo_u32 v8, v4, v8
	v_add_co_u32_e32 v11, vcc, v11, v12
	v_addc_co_u32_e32 v11, vcc, v13, v14, vcc
	v_addc_co_u32_e32 v12, vcc, 0, v16, vcc
	v_add_co_u32_e32 v8, vcc, v11, v8
	v_addc_co_u32_e32 v11, vcc, 0, v12, vcc
	v_add_co_u32_e32 v3, vcc, v3, v8
	v_addc_co_u32_e32 v4, vcc, v4, v11, vcc
	v_mul_lo_u32 v8, s0, v4
	v_mul_hi_u32 v11, s0, v3
	v_mul_lo_u32 v12, s1, v3
	v_mul_lo_u32 v13, s0, v3
	v_add_u32_e32 v8, v11, v8
	v_add_u32_e32 v8, v8, v12
	v_mul_lo_u32 v14, v3, v8
	v_mul_hi_u32 v15, v3, v13
	v_mul_hi_u32 v16, v3, v8
	v_mul_hi_u32 v12, v4, v13
	v_mul_lo_u32 v13, v4, v13
	v_mul_hi_u32 v11, v4, v8
	v_add_co_u32_e32 v14, vcc, v15, v14
	v_addc_co_u32_e32 v15, vcc, 0, v16, vcc
	v_mul_lo_u32 v8, v4, v8
	v_add_co_u32_e32 v13, vcc, v14, v13
	v_addc_co_u32_e32 v12, vcc, v15, v12, vcc
	v_addc_co_u32_e32 v11, vcc, 0, v11, vcc
	v_add_co_u32_e32 v8, vcc, v12, v8
	v_addc_co_u32_e32 v11, vcc, 0, v11, vcc
	v_add_co_u32_e32 v8, vcc, v3, v8
	v_addc_co_u32_e32 v11, vcc, v4, v11, vcc
	v_mad_u64_u32 v[3:4], s[0:1], v9, v11, 0
	v_mul_hi_u32 v12, v9, v8
	v_add_co_u32_e32 v13, vcc, v12, v3
	v_addc_co_u32_e32 v14, vcc, 0, v4, vcc
	v_mad_u64_u32 v[3:4], s[0:1], v10, v8, 0
	v_mad_u64_u32 v[11:12], s[0:1], v10, v11, 0
	v_add_co_u32_e32 v3, vcc, v13, v3
	v_addc_co_u32_e32 v3, vcc, v14, v4, vcc
	v_addc_co_u32_e32 v4, vcc, 0, v12, vcc
	v_add_co_u32_e32 v8, vcc, v3, v11
	v_addc_co_u32_e32 v11, vcc, 0, v4, vcc
	v_mul_lo_u32 v12, s25, v8
	v_mul_lo_u32 v13, s24, v11
	v_mad_u64_u32 v[3:4], s[0:1], s24, v8, 0
	v_add3_u32 v4, v4, v13, v12
	v_sub_u32_e32 v12, v10, v4
	v_mov_b32_e32 v13, s25
	v_sub_co_u32_e32 v3, vcc, v9, v3
	v_subb_co_u32_e64 v12, s[0:1], v12, v13, vcc
	v_subrev_co_u32_e64 v13, s[0:1], s24, v3
	v_subbrev_co_u32_e64 v12, s[0:1], 0, v12, s[0:1]
	v_cmp_le_u32_e64 s[0:1], s25, v12
	v_cndmask_b32_e64 v14, 0, -1, s[0:1]
	v_cmp_le_u32_e64 s[0:1], s24, v13
	v_cndmask_b32_e64 v13, 0, -1, s[0:1]
	v_cmp_eq_u32_e64 s[0:1], s25, v12
	v_cndmask_b32_e64 v12, v14, v13, s[0:1]
	v_add_co_u32_e64 v13, s[0:1], 2, v8
	v_addc_co_u32_e64 v14, s[0:1], 0, v11, s[0:1]
	v_add_co_u32_e64 v15, s[0:1], 1, v8
	v_addc_co_u32_e64 v16, s[0:1], 0, v11, s[0:1]
	v_subb_co_u32_e32 v4, vcc, v10, v4, vcc
	v_cmp_ne_u32_e64 s[0:1], 0, v12
	v_cmp_le_u32_e32 vcc, s25, v4
	v_cndmask_b32_e64 v12, v16, v14, s[0:1]
	v_cndmask_b32_e64 v14, 0, -1, vcc
	v_cmp_le_u32_e32 vcc, s24, v3
	v_cndmask_b32_e64 v3, 0, -1, vcc
	v_cmp_eq_u32_e32 vcc, s25, v4
	v_cndmask_b32_e32 v3, v14, v3, vcc
	v_cmp_ne_u32_e32 vcc, 0, v3
	v_cndmask_b32_e64 v3, v15, v13, s[0:1]
	v_cndmask_b32_e32 v4, v11, v12, vcc
	v_cndmask_b32_e32 v3, v8, v3, vcc
.LBB0_4:                                ;   in Loop: Header=BB0_2 Depth=1
	s_andn2_saveexec_b64 s[0:1], s[26:27]
	s_cbranch_execz .LBB0_6
; %bb.5:                                ;   in Loop: Header=BB0_2 Depth=1
	v_cvt_f32_u32_e32 v3, s24
	s_sub_i32 s26, 0, s24
	v_rcp_iflag_f32_e32 v3, v3
	v_mul_f32_e32 v3, 0x4f7ffffe, v3
	v_cvt_u32_f32_e32 v3, v3
	v_mul_lo_u32 v4, s26, v3
	v_mul_hi_u32 v4, v3, v4
	v_add_u32_e32 v3, v3, v4
	v_mul_hi_u32 v3, v9, v3
	v_mul_lo_u32 v4, v3, s24
	v_add_u32_e32 v8, 1, v3
	v_sub_u32_e32 v4, v9, v4
	v_subrev_u32_e32 v11, s24, v4
	v_cmp_le_u32_e32 vcc, s24, v4
	v_cndmask_b32_e32 v4, v4, v11, vcc
	v_cndmask_b32_e32 v3, v3, v8, vcc
	v_add_u32_e32 v8, 1, v3
	v_cmp_le_u32_e32 vcc, s24, v4
	v_cndmask_b32_e32 v3, v3, v8, vcc
	v_mov_b32_e32 v4, v7
.LBB0_6:                                ;   in Loop: Header=BB0_2 Depth=1
	s_or_b64 exec, exec, s[0:1]
	v_mul_lo_u32 v8, v4, s24
	v_mul_lo_u32 v13, v3, s25
	v_mad_u64_u32 v[11:12], s[0:1], v3, s24, 0
	s_load_dwordx2 s[0:1], s[6:7], 0x0
	s_load_dwordx2 s[24:25], s[2:3], 0x0
	v_add3_u32 v8, v12, v13, v8
	v_sub_co_u32_e32 v9, vcc, v9, v11
	v_subb_co_u32_e32 v8, vcc, v10, v8, vcc
	s_waitcnt lgkmcnt(0)
	v_mul_lo_u32 v10, s0, v8
	v_mul_lo_u32 v11, s1, v9
	v_mad_u64_u32 v[5:6], s[0:1], s0, v9, v[5:6]
	v_mul_lo_u32 v8, s24, v8
	v_mul_lo_u32 v12, s25, v9
	v_mad_u64_u32 v[1:2], s[0:1], s24, v9, v[1:2]
	s_add_u32 s22, s22, 1
	s_addc_u32 s23, s23, 0
	s_add_u32 s2, s2, 8
	v_add3_u32 v2, v12, v2, v8
	s_addc_u32 s3, s3, 0
	v_mov_b32_e32 v8, s10
	s_add_u32 s6, s6, 8
	v_mov_b32_e32 v9, s11
	s_addc_u32 s7, s7, 0
	v_cmp_ge_u64_e32 vcc, s[22:23], v[8:9]
	s_add_u32 s20, s20, 8
	v_add3_u32 v6, v11, v6, v10
	s_addc_u32 s21, s21, 0
	s_cbranch_vccnz .LBB0_9
; %bb.7:                                ;   in Loop: Header=BB0_2 Depth=1
	v_mov_b32_e32 v10, v4
	v_mov_b32_e32 v9, v3
	s_branch .LBB0_2
.LBB0_8:
	v_mov_b32_e32 v1, v5
	v_mov_b32_e32 v3, v9
	;; [unrolled: 1-line block ×4, first 2 shown]
.LBB0_9:
	s_load_dwordx2 s[2:3], s[4:5], 0x28
	s_lshl_b64 s[6:7], s[10:11], 3
	s_add_u32 s4, s18, s6
	s_addc_u32 s5, s19, s7
                                        ; implicit-def: $sgpr10
                                        ; implicit-def: $vgpr67
	s_waitcnt lgkmcnt(0)
	v_cmp_gt_u64_e64 s[0:1], s[2:3], v[3:4]
	v_cmp_le_u64_e32 vcc, s[2:3], v[3:4]
	s_and_saveexec_b64 s[2:3], vcc
	s_xor_b64 s[2:3], exec, s[2:3]
; %bb.10:
	s_mov_b32 s10, 0x5d1745e
	v_mul_hi_u32 v5, v0, s10
	s_mov_b32 s10, 0
	v_mul_u32_u24_e32 v5, 44, v5
	v_sub_u32_e32 v67, v0, v5
                                        ; implicit-def: $vgpr0
                                        ; implicit-def: $vgpr5_vgpr6
; %bb.11:
	s_or_saveexec_b64 s[2:3], s[2:3]
	s_load_dwordx2 s[4:5], s[4:5], 0x0
	v_mov_b32_e32 v13, s10
	v_mov_b32_e32 v12, s10
                                        ; implicit-def: $vgpr11
                                        ; implicit-def: $vgpr23
                                        ; implicit-def: $vgpr15
                                        ; implicit-def: $vgpr25
                                        ; implicit-def: $vgpr17
                                        ; implicit-def: $vgpr7
                                        ; implicit-def: $vgpr19
                                        ; implicit-def: $vgpr9
                                        ; implicit-def: $vgpr21
                                        ; implicit-def: $vgpr27
                                        ; implicit-def: $vgpr39
                                        ; implicit-def: $vgpr29
                                        ; implicit-def: $vgpr41
                                        ; implicit-def: $vgpr31
                                        ; implicit-def: $vgpr43
                                        ; implicit-def: $vgpr33
                                        ; implicit-def: $vgpr46
                                        ; implicit-def: $vgpr51
                                        ; implicit-def: $vgpr56
                                        ; implicit-def: $vgpr35
                                        ; implicit-def: $vgpr37
	s_xor_b64 exec, exec, s[2:3]
	s_cbranch_execz .LBB0_15
; %bb.12:
	s_add_u32 s6, s16, s6
	s_addc_u32 s7, s17, s7
	s_load_dwordx2 s[6:7], s[6:7], 0x0
	s_mov_b32 s10, 0x5d1745e
	v_mul_hi_u32 v9, v0, s10
	v_lshlrev_b64 v[5:6], 3, v[5:6]
                                        ; implicit-def: $vgpr55
	s_waitcnt lgkmcnt(0)
	v_mul_lo_u32 v10, s7, v3
	v_mul_lo_u32 v11, s6, v4
	v_mad_u64_u32 v[7:8], s[6:7], s6, v3, 0
	v_mul_u32_u24_e32 v9, 44, v9
	v_sub_u32_e32 v67, v0, v9
	v_add3_u32 v8, v8, v11, v10
	v_lshlrev_b64 v[7:8], 3, v[7:8]
	v_mov_b32_e32 v0, s13
	v_add_co_u32_e32 v7, vcc, s12, v7
	v_addc_co_u32_e32 v0, vcc, v0, v8, vcc
	v_add_co_u32_e32 v5, vcc, v7, v5
	v_addc_co_u32_e32 v0, vcc, v0, v6, vcc
	v_lshlrev_b32_e32 v6, 3, v67
	v_add_co_u32_e32 v47, vcc, v5, v6
	v_addc_co_u32_e32 v48, vcc, 0, v0, vcc
	s_movk_i32 s6, 0x1000
	v_add_co_u32_e32 v12, vcc, s6, v47
	v_addc_co_u32_e32 v13, vcc, 0, v48, vcc
	global_load_dwordx2 v[6:7], v[12:13], off offset:304
	global_load_dwordx2 v[8:9], v[12:13], off offset:656
	;; [unrolled: 1-line block ×8, first 2 shown]
	global_load_dwordx2 v[10:11], v[47:48], off
	global_load_dwordx2 v[14:15], v[47:48], off offset:352
	global_load_dwordx2 v[16:17], v[47:48], off offset:704
	;; [unrolled: 1-line block ×6, first 2 shown]
                                        ; kill: killed $vgpr12 killed $vgpr13
	global_load_dwordx2 v[42:43], v[47:48], off offset:2464
	global_load_dwordx2 v[45:46], v[47:48], off offset:2816
	;; [unrolled: 1-line block ×5, first 2 shown]
	v_cmp_gt_u32_e32 vcc, 22, v67
	v_mov_b32_e32 v12, 0
	v_mov_b32_e32 v13, 0
	s_and_saveexec_b64 s[6:7], vcc
	s_cbranch_execz .LBB0_14
; %bb.13:
	v_add_co_u32_e32 v52, vcc, 0x1000, v47
	v_addc_co_u32_e32 v53, vcc, 0, v48, vcc
	global_load_dwordx2 v[12:13], v[47:48], off offset:3520
	global_load_dwordx2 v[55:56], v[52:53], off offset:3120
.LBB0_14:
	s_or_b64 exec, exec, s[6:7]
.LBB0_15:
	s_or_b64 exec, exec, s[2:3]
	s_waitcnt vmcnt(6)
	v_sub_f32_e32 v62, v38, v28
	v_sub_f32_e32 v6, v16, v6
	v_fma_f32 v61, v38, 2.0, -v62
	v_add_u32_e32 v38, 0x58, v67
	v_fma_f32 v5, v16, 2.0, -v6
	v_lshl_add_u32 v16, v38, 3, 0
	s_waitcnt vmcnt(5)
	v_sub_f32_e32 v64, v40, v30
	ds_write_b64 v16, v[5:6]
	s_waitcnt vmcnt(4)
	v_sub_f32_e32 v6, v42, v32
	v_add_u32_e32 v30, 0x134, v67
	v_sub_f32_e32 v60, v20, v26
	v_fma_f32 v5, v42, 2.0, -v6
	v_lshl_add_u32 v26, v30, 3, 0
	ds_write_b64 v26, v[5:6]
	s_waitcnt vmcnt(3)
	v_sub_f32_e32 v6, v45, v36
	v_add_u32_e32 v36, 0x160, v67
	v_fma_f32 v5, v45, 2.0, -v6
	v_lshl_add_u32 v28, v36, 3, 0
	ds_write_b64 v28, v[5:6]
	s_waitcnt vmcnt(0)
	v_sub_f32_e32 v6, v50, v34
	v_add_u32_e32 v34, 0x18c, v67
	v_fma_f32 v5, v50, 2.0, -v6
	v_lshl_add_u32 v42, v34, 3, 0
	v_sub_f32_e32 v48, v10, v22
	v_sub_f32_e32 v53, v14, v24
	;; [unrolled: 1-line block ×3, first 2 shown]
	v_fma_f32 v63, v40, 2.0, -v64
	v_add_u32_e32 v0, 44, v67
	v_add_u32_e32 v71, 0x84, v67
	;; [unrolled: 1-line block ×5, first 2 shown]
	ds_write_b64 v42, v[5:6]
	v_sub_f32_e32 v6, v12, v55
	v_add_u32_e32 v32, 0x1b8, v67
	v_fma_f32 v47, v10, 2.0, -v48
	v_fma_f32 v52, v14, 2.0, -v53
	;; [unrolled: 1-line block ×4, first 2 shown]
	v_lshl_add_u32 v8, v67, 3, 0
	v_lshl_add_u32 v10, v0, 3, 0
	;; [unrolled: 1-line block ×6, first 2 shown]
	v_fma_f32 v5, v12, 2.0, -v6
	v_cmp_gt_u32_e32 vcc, 22, v67
	v_lshl_add_u32 v12, v32, 3, 0
	ds_write_b64 v8, v[47:48]
	ds_write_b64 v10, v[52:53]
	;; [unrolled: 1-line block ×6, first 2 shown]
	s_and_saveexec_b64 s[2:3], vcc
	s_cbranch_execz .LBB0_17
; %bb.16:
	ds_write_b64 v12, v[5:6]
.LBB0_17:
	s_or_b64 exec, exec, s[2:3]
	v_lshl_add_u32 v68, v67, 2, 0
	v_add_u32_e32 v14, 0x400, v68
	v_add_u32_e32 v44, 0x800, v68
	s_waitcnt lgkmcnt(0)
	; wave barrier
	s_waitcnt lgkmcnt(0)
	ds_read2_b32 v[57:58], v68 offset1:44
	ds_read2_b32 v[54:55], v14 offset0:206 offset1:250
	ds_read2_b32 v[59:60], v68 offset0:88 offset1:132
	;; [unrolled: 1-line block ×6, first 2 shown]
	v_add_u32_e32 v44, 0xa00, v68
	ds_read2_b32 v[47:48], v44 offset0:86 offset1:130
	ds_read2_b32 v[65:66], v14 offset0:96 offset1:140
	v_add_u32_e32 v14, 0xc00, v68
	ds_read2_b32 v[44:45], v14 offset0:46 offset1:90
	s_and_saveexec_b64 s[2:3], vcc
	s_cbranch_execz .LBB0_19
; %bb.18:
	ds_read_b32 v5, v68 offset:1760
	ds_read_b32 v6, v68 offset:3608
.LBB0_19:
	s_or_b64 exec, exec, s[2:3]
	v_sub_f32_e32 v73, v11, v23
	v_sub_f32_e32 v14, v13, v56
	v_fma_f32 v72, v11, 2.0, -v73
	v_sub_f32_e32 v75, v15, v25
	v_sub_f32_e32 v77, v17, v7
	;; [unrolled: 1-line block ×9, first 2 shown]
	v_fma_f32 v13, v13, 2.0, -v14
	v_fma_f32 v74, v15, 2.0, -v75
	;; [unrolled: 1-line block ×10, first 2 shown]
	s_waitcnt lgkmcnt(0)
	; wave barrier
	s_waitcnt lgkmcnt(0)
	ds_write_b64 v8, v[72:73]
	ds_write_b64 v10, v[74:75]
	;; [unrolled: 1-line block ×10, first 2 shown]
	s_and_saveexec_b64 s[2:3], vcc
	s_cbranch_execz .LBB0_21
; %bb.20:
	ds_write_b64 v12, v[13:14]
.LBB0_21:
	s_or_b64 exec, exec, s[2:3]
	v_add_u32_e32 v7, 0x400, v68
	v_add_u32_e32 v8, 0x800, v68
	s_waitcnt lgkmcnt(0)
	; wave barrier
	s_waitcnt lgkmcnt(0)
	ds_read2_b32 v[17:18], v68 offset1:44
	ds_read2_b32 v[27:28], v7 offset0:206 offset1:250
	ds_read2_b32 v[15:16], v68 offset0:88 offset1:132
	;; [unrolled: 1-line block ×6, first 2 shown]
	v_add_u32_e32 v8, 0xa00, v68
	v_add_u32_e32 v19, 0xc00, v68
	ds_read2_b32 v[21:22], v8 offset0:86 offset1:130
	ds_read2_b32 v[7:8], v7 offset0:96 offset1:140
	;; [unrolled: 1-line block ×3, first 2 shown]
	v_lshlrev_b32_e32 v33, 1, v67
	v_lshlrev_b32_e32 v35, 1, v0
	;; [unrolled: 1-line block ×10, first 2 shown]
	s_and_saveexec_b64 s[2:3], vcc
	s_cbranch_execz .LBB0_23
; %bb.22:
	ds_read_b32 v13, v68 offset:1760
	ds_read_b32 v14, v68 offset:3608
.LBB0_23:
	s_or_b64 exec, exec, s[2:3]
	v_and_b32_e32 v31, 1, v67
	v_lshlrev_b32_e32 v29, 3, v31
	global_load_dwordx2 v[29:30], v29, s[8:9]
	s_movk_i32 s3, 0xfc
	s_movk_i32 s7, 0x1fc
	;; [unrolled: 1-line block ×4, first 2 shown]
	v_and_or_b32 v35, v35, s3, v31
	v_and_or_b32 v37, v37, s7, v31
	;; [unrolled: 1-line block ×9, first 2 shown]
	v_lshl_add_u32 v34, v35, 2, 0
	v_lshl_add_u32 v35, v37, 2, 0
	;; [unrolled: 1-line block ×4, first 2 shown]
	s_movk_i32 s2, 0x7c
	v_lshl_add_u32 v36, v39, 2, 0
	v_lshl_add_u32 v39, v42, 2, 0
	;; [unrolled: 1-line block ×5, first 2 shown]
	v_and_or_b32 v33, v33, s2, v31
	v_lshl_add_u32 v33, v33, 2, 0
	v_lshlrev_b32_e32 v32, 1, v32
	s_waitcnt lgkmcnt(0)
	; wave barrier
	s_waitcnt vmcnt(0) lgkmcnt(0)
	v_mul_f32_e32 v46, v27, v30
	v_mul_f32_e32 v56, v28, v30
	;; [unrolled: 1-line block ×11, first 2 shown]
	v_fmac_f32_e32 v46, v54, v29
	v_fmac_f32_e32 v56, v55, v29
	;; [unrolled: 1-line block ×11, first 2 shown]
	v_sub_f32_e32 v81, v57, v46
	v_sub_f32_e32 v56, v58, v56
	;; [unrolled: 1-line block ×11, first 2 shown]
	v_fma_f32 v57, v57, 2.0, -v81
	v_fma_f32 v58, v58, 2.0, -v56
	;; [unrolled: 1-line block ×10, first 2 shown]
	ds_write2_b32 v33, v57, v81 offset1:2
	ds_write2_b32 v34, v58, v56 offset1:2
	ds_write2_b32 v35, v59, v72 offset1:2
	ds_write2_b32 v36, v60, v73 offset1:2
	ds_write2_b32 v37, v61, v74 offset1:2
	ds_write2_b32 v39, v62, v75 offset1:2
	ds_write2_b32 v41, v63, v76 offset1:2
	ds_write2_b32 v42, v64, v77 offset1:2
	ds_write2_b32 v43, v65, v78 offset1:2
	ds_write2_b32 v51, v66, v79 offset1:2
	s_and_saveexec_b64 s[2:3], vcc
	s_cbranch_execz .LBB0_25
; %bb.24:
	v_and_or_b32 v56, v32, s6, v31
	v_lshl_add_u32 v56, v56, 2, 0
	v_fma_f32 v5, v5, 2.0, -v46
	ds_write2_b32 v56, v5, v46 offset1:2
.LBB0_25:
	s_or_b64 exec, exec, s[2:3]
	v_mul_f32_e32 v5, v54, v30
	v_fma_f32 v5, v27, v29, -v5
	v_mul_f32_e32 v27, v55, v30
	v_fma_f32 v27, v28, v29, -v27
	;; [unrolled: 2-line block ×11, first 2 shown]
	v_sub_f32_e32 v47, v18, v27
	v_sub_f32_e32 v52, v16, v26
	;; [unrolled: 1-line block ×8, first 2 shown]
	v_add_u32_e32 v27, 0x400, v68
	v_add_u32_e32 v26, 0x800, v68
	v_sub_f32_e32 v30, v17, v5
	v_fma_f32 v48, v18, 2.0, -v47
	v_sub_f32_e32 v49, v15, v25
	v_fma_f32 v55, v11, 2.0, -v54
	v_fma_f32 v57, v12, 2.0, -v56
	;; [unrolled: 1-line block ×6, first 2 shown]
	v_sub_f32_e32 v45, v13, v6
	s_waitcnt lgkmcnt(0)
	; wave barrier
	s_waitcnt lgkmcnt(0)
	ds_read2_b32 v[11:12], v68 offset1:44
	ds_read2_b32 v[5:6], v27 offset0:8 offset1:52
	ds_read2_b32 v[24:25], v26 offset0:104 offset1:148
	;; [unrolled: 1-line block ×7, first 2 shown]
	v_add_u32_e32 v28, 0xc00, v68
	v_fma_f32 v44, v17, 2.0, -v30
	v_fma_f32 v50, v15, 2.0, -v49
	;; [unrolled: 1-line block ×3, first 2 shown]
	ds_read2_b32 v[16:17], v28 offset0:24 offset1:68
	ds_read2_b32 v[14:15], v26 offset0:16 offset1:60
	ds_read_b32 v29, v68 offset:3520
	s_waitcnt lgkmcnt(0)
	; wave barrier
	s_waitcnt lgkmcnt(0)
	ds_write2_b32 v33, v44, v30 offset1:2
	ds_write2_b32 v34, v48, v47 offset1:2
	;; [unrolled: 1-line block ×10, first 2 shown]
	s_and_saveexec_b64 s[2:3], vcc
	s_cbranch_execz .LBB0_27
; %bb.26:
	v_and_or_b32 v30, v32, s6, v31
	v_fma_f32 v13, v13, 2.0, -v45
	v_lshl_add_u32 v30, v30, 2, 0
	ds_write2_b32 v30, v13, v45 offset1:2
.LBB0_27:
	s_or_b64 exec, exec, s[2:3]
	v_and_b32_e32 v13, 3, v67
	v_lshlrev_b32_e32 v30, 4, v13
	s_waitcnt lgkmcnt(0)
	; wave barrier
	s_waitcnt lgkmcnt(0)
	global_load_dwordx4 v[30:33], v30, s[8:9] offset:16
	ds_read2_b32 v[34:35], v68 offset1:44
	ds_read2_b32 v[36:37], v27 offset0:8 offset1:52
	ds_read2_b32 v[41:42], v26 offset0:104 offset1:148
	;; [unrolled: 1-line block ×9, first 2 shown]
	ds_read_b32 v39, v68 offset:3520
	s_waitcnt lgkmcnt(0)
	; wave barrier
	s_waitcnt lgkmcnt(0)
	s_movk_i32 s2, 0xab
	s_mov_b32 s10, 0xbf5ff5aa
	s_mov_b32 s11, 0x3f3bfb3b
	;; [unrolled: 1-line block ×4, first 2 shown]
	s_waitcnt vmcnt(0)
	v_mul_f32_e32 v59, v37, v31
	v_mul_f32_e32 v61, v41, v33
	;; [unrolled: 1-line block ×16, first 2 shown]
	v_fmac_f32_e32 v59, v6, v30
	v_fmac_f32_e32 v61, v24, v32
	v_mul_f32_e32 v65, v42, v33
	v_mul_f32_e32 v66, v25, v33
	;; [unrolled: 1-line block ×12, first 2 shown]
	v_fma_f32 v6, v37, v30, -v60
	v_fma_f32 v24, v41, v32, -v62
	v_fmac_f32_e32 v88, v15, v30
	v_fma_f32 v15, v58, v30, -v31
	v_add_f32_e32 v31, v59, v61
	v_fmac_f32_e32 v63, v22, v30
	v_fma_f32 v22, v43, v30, -v64
	v_fmac_f32_e32 v65, v25, v32
	v_fma_f32 v25, v42, v32, -v66
	;; [unrolled: 2-line block ×11, first 2 shown]
	v_add_f32_e32 v30, v11, v59
	v_sub_f32_e32 v32, v6, v24
	v_add_f32_e32 v33, v34, v6
	v_add_f32_e32 v6, v6, v24
	v_fma_f32 v11, -0.5, v31, v11
	v_fma_f32 v6, -0.5, v6, v34
	v_mov_b32_e32 v31, v11
	v_add_f32_e32 v34, v63, v65
	v_sub_f32_e32 v37, v59, v61
	v_add_f32_e32 v24, v33, v24
	v_fmac_f32_e32 v11, 0x3f5db3d7, v32
	v_mov_b32_e32 v33, v6
	v_fmac_f32_e32 v31, 0xbf5db3d7, v32
	v_add_f32_e32 v32, v12, v63
	v_fmac_f32_e32 v12, -0.5, v34
	v_fmac_f32_e32 v6, 0xbf5db3d7, v37
	v_fmac_f32_e32 v33, 0x3f5db3d7, v37
	v_sub_f32_e32 v34, v22, v25
	v_mov_b32_e32 v37, v12
	v_fmac_f32_e32 v37, 0xbf5db3d7, v34
	v_fmac_f32_e32 v12, 0x3f5db3d7, v34
	v_add_f32_e32 v34, v35, v22
	v_add_f32_e32 v22, v22, v25
	v_fmac_f32_e32 v35, -0.5, v22
	v_add_f32_e32 v34, v34, v25
	v_sub_f32_e32 v22, v63, v65
	v_mov_b32_e32 v25, v35
	v_add_f32_e32 v39, v72, v74
	v_fmac_f32_e32 v25, 0x3f5db3d7, v22
	v_fmac_f32_e32 v35, 0xbf5db3d7, v22
	v_add_f32_e32 v22, v9, v72
	v_fma_f32 v9, -0.5, v39, v9
	v_sub_f32_e32 v39, v23, v20
	v_mov_b32_e32 v41, v9
	v_fmac_f32_e32 v41, 0xbf5db3d7, v39
	v_fmac_f32_e32 v9, 0x3f5db3d7, v39
	v_add_f32_e32 v39, v47, v23
	v_add_f32_e32 v49, v39, v20
	;; [unrolled: 1-line block ×3, first 2 shown]
	v_fma_f32 v20, -0.5, v20, v47
	v_sub_f32_e32 v23, v72, v74
	v_mov_b32_e32 v47, v20
	v_add_f32_e32 v39, v76, v78
	v_fmac_f32_e32 v47, 0x3f5db3d7, v23
	v_fmac_f32_e32 v20, 0xbf5db3d7, v23
	v_add_f32_e32 v23, v10, v76
	v_fmac_f32_e32 v10, -0.5, v39
	v_sub_f32_e32 v39, v18, v21
	v_mov_b32_e32 v42, v10
	v_fmac_f32_e32 v42, 0xbf5db3d7, v39
	v_fmac_f32_e32 v10, 0x3f5db3d7, v39
	v_add_f32_e32 v39, v48, v18
	v_add_f32_e32 v18, v18, v21
	v_fmac_f32_e32 v48, -0.5, v18
	v_add_f32_e32 v50, v39, v21
	v_sub_f32_e32 v18, v76, v78
	v_mov_b32_e32 v21, v48
	v_add_f32_e32 v39, v80, v82
	v_fmac_f32_e32 v21, 0x3f5db3d7, v18
	v_fmac_f32_e32 v48, 0xbf5db3d7, v18
	v_add_f32_e32 v18, v7, v80
	v_fma_f32 v7, -0.5, v39, v7
	v_sub_f32_e32 v39, v19, v16
	v_mov_b32_e32 v43, v7
	v_fmac_f32_e32 v43, 0xbf5db3d7, v39
	v_fmac_f32_e32 v7, 0x3f5db3d7, v39
	v_add_f32_e32 v39, v53, v19
	v_add_f32_e32 v51, v39, v16
	;; [unrolled: 1-line block ×3, first 2 shown]
	v_fma_f32 v16, -0.5, v16, v53
	v_sub_f32_e32 v19, v80, v82
	v_mov_b32_e32 v55, v16
	v_add_f32_e32 v39, v84, v86
	v_fmac_f32_e32 v55, 0x3f5db3d7, v19
	v_fmac_f32_e32 v16, 0xbf5db3d7, v19
	v_add_f32_e32 v19, v8, v84
	v_fmac_f32_e32 v8, -0.5, v39
	v_sub_f32_e32 v39, v14, v17
	v_mov_b32_e32 v44, v8
	v_fmac_f32_e32 v44, 0xbf5db3d7, v39
	v_fmac_f32_e32 v8, 0x3f5db3d7, v39
	v_add_f32_e32 v39, v54, v14
	v_add_f32_e32 v14, v14, v17
	v_fmac_f32_e32 v54, -0.5, v14
	v_add_f32_e32 v56, v39, v17
	v_sub_f32_e32 v14, v84, v86
	v_mov_b32_e32 v57, v54
	v_add_f32_e32 v17, v88, v89
	v_fmac_f32_e32 v57, 0x3f5db3d7, v14
	v_fmac_f32_e32 v54, 0xbf5db3d7, v14
	v_add_f32_e32 v14, v5, v88
	v_fmac_f32_e32 v5, -0.5, v17
	v_sub_f32_e32 v17, v15, v29
	v_mov_b32_e32 v39, v5
	v_fmac_f32_e32 v39, 0xbf5db3d7, v17
	v_fmac_f32_e32 v5, 0x3f5db3d7, v17
	v_add_f32_e32 v17, v36, v15
	v_add_f32_e32 v15, v15, v29
	v_fmac_f32_e32 v36, -0.5, v15
	v_add_f32_e32 v58, v17, v29
	v_sub_f32_e32 v15, v88, v89
	v_mov_b32_e32 v29, v36
	v_fmac_f32_e32 v29, 0x3f5db3d7, v15
	v_fmac_f32_e32 v36, 0xbf5db3d7, v15
	v_lshrrev_b32_e32 v15, 2, v67
	v_mul_u32_u24_e32 v15, 12, v15
	v_or_b32_e32 v15, v15, v13
	v_add_f32_e32 v30, v30, v61
	v_lshl_add_u32 v15, v15, 2, 0
	ds_write2_b32 v15, v30, v31 offset1:4
	ds_write_b32 v15, v11 offset:32
	v_lshrrev_b32_e32 v11, 2, v0
	v_mul_u32_u24_e32 v11, 12, v11
	v_or_b32_e32 v11, v11, v13
	v_add_f32_e32 v32, v32, v65
	v_lshl_add_u32 v11, v11, 2, 0
	ds_write2_b32 v11, v32, v37 offset1:4
	ds_write_b32 v11, v12 offset:32
	;; [unrolled: 7-line block ×7, first 2 shown]
	v_mul_lo_u16_sdwa v5, v67, s2 dst_sel:DWORD dst_unused:UNUSED_PAD src0_sel:BYTE_0 src1_sel:DWORD
	s_waitcnt lgkmcnt(0)
	; wave barrier
	s_waitcnt lgkmcnt(0)
	ds_read2_b32 v[13:14], v68 offset1:44
	ds_read2_b32 v[17:18], v68 offset0:88 offset1:132
	ds_read2_b32 v[39:40], v27 offset0:8 offset1:52
	;; [unrolled: 1-line block ×9, first 2 shown]
	ds_read_b32 v103, v68 offset:3520
	s_waitcnt lgkmcnt(0)
	; wave barrier
	s_waitcnt lgkmcnt(0)
	ds_write2_b32 v15, v24, v33 offset1:4
	ds_write_b32 v15, v6 offset:32
	ds_write2_b32 v11, v34, v25 offset1:4
	ds_write_b32 v11, v35 offset:32
	;; [unrolled: 2-line block ×7, first 2 shown]
	v_lshrrev_b16_e32 v47, 11, v5
	v_mul_lo_u16_e32 v5, 12, v47
	v_sub_u16_e32 v104, v67, v5
	v_mov_b32_e32 v15, 6
	v_mul_u32_u24_sdwa v5, v104, v15 dst_sel:DWORD dst_unused:UNUSED_PAD src0_sel:BYTE_0 src1_sel:DWORD
	v_lshlrev_b32_e32 v16, 3, v5
	s_waitcnt lgkmcnt(0)
	; wave barrier
	s_waitcnt lgkmcnt(0)
	global_load_dwordx4 v[5:8], v16, s[8:9] offset:80
	global_load_dwordx4 v[9:12], v16, s[8:9] offset:96
	;; [unrolled: 1-line block ×3, first 2 shown]
	v_mul_lo_u16_sdwa v16, v0, s2 dst_sel:DWORD dst_unused:UNUSED_PAD src0_sel:BYTE_0 src1_sel:DWORD
	v_lshrrev_b16_e32 v105, 11, v16
	v_mul_lo_u16_e32 v16, 12, v105
	v_sub_u16_e32 v106, v0, v16
	v_mul_u32_u24_sdwa v16, v106, v15 dst_sel:DWORD dst_unused:UNUSED_PAD src0_sel:BYTE_0 src1_sel:DWORD
	v_lshlrev_b32_e32 v16, 3, v16
	global_load_dwordx4 v[29:32], v16, s[8:9] offset:80
	global_load_dwordx4 v[33:36], v16, s[8:9] offset:96
	;; [unrolled: 1-line block ×3, first 2 shown]
	v_mul_lo_u16_sdwa v16, v38, s2 dst_sel:DWORD dst_unused:UNUSED_PAD src0_sel:BYTE_0 src1_sel:DWORD
	v_lshrrev_b16_e32 v107, 11, v16
	v_mul_lo_u16_e32 v16, 12, v107
	v_sub_u16_e32 v108, v38, v16
	v_mul_u32_u24_sdwa v15, v108, v15 dst_sel:DWORD dst_unused:UNUSED_PAD src0_sel:BYTE_0 src1_sel:DWORD
	v_lshlrev_b32_e32 v15, 3, v15
	global_load_dwordx4 v[75:78], v15, s[8:9] offset:80
	global_load_dwordx4 v[79:82], v15, s[8:9] offset:96
	;; [unrolled: 1-line block ×3, first 2 shown]
	ds_read2_b32 v[15:16], v68 offset1:44
	ds_read2_b32 v[20:21], v68 offset0:88 offset1:132
	ds_read2_b32 v[37:38], v27 offset0:8 offset1:52
	;; [unrolled: 1-line block ×9, first 2 shown]
	ds_read_b32 v109, v68 offset:3520
	s_waitcnt lgkmcnt(0)
	; wave barrier
	s_waitcnt lgkmcnt(0)
	v_cmp_gt_u32_e64 s[2:3], 40, v67
	s_waitcnt vmcnt(8)
	v_mul_f32_e32 v48, v21, v6
	v_mul_f32_e32 v6, v18, v6
	v_fmac_f32_e32 v48, v18, v5
	v_fma_f32 v54, v21, v5, -v6
	v_mul_f32_e32 v5, v39, v8
	v_fma_f32 v56, v37, v7, -v5
	s_waitcnt vmcnt(7)
	v_mul_f32_e32 v5, v53, v10
	v_fma_f32 v57, v70, v9, -v5
	v_mul_f32_e32 v5, v41, v12
	v_fma_f32 v61, v91, v11, -v5
	s_waitcnt vmcnt(6)
	v_mul_f32_e32 v5, v60, v23
	v_fma_f32 v65, v94, v22, -v5
	v_mul_f32_e32 v5, v43, v25
	v_mul_f32_e32 v55, v70, v10
	;; [unrolled: 1-line block ×3, first 2 shown]
	v_fma_f32 v70, v95, v24, -v5
	s_waitcnt vmcnt(5)
	v_mul_f32_e32 v5, v63, v30
	v_fmac_f32_e32 v62, v60, v22
	v_mul_f32_e32 v66, v95, v25
	v_fma_f32 v22, v97, v29, -v5
	v_mul_f32_e32 v5, v40, v32
	v_fmac_f32_e32 v66, v43, v24
	v_fma_f32 v24, v38, v31, -v5
	s_waitcnt vmcnt(4)
	v_mul_f32_e32 v5, v87, v34
	v_fma_f32 v25, v99, v33, -v5
	v_mul_f32_e32 v5, v42, v36
	v_mul_f32_e32 v50, v37, v8
	;; [unrolled: 1-line block ×3, first 2 shown]
	v_fma_f32 v37, v92, v35, -v5
	s_waitcnt vmcnt(3)
	v_mul_f32_e32 v5, v89, v72
	v_fmac_f32_e32 v58, v41, v11
	v_fma_f32 v41, v101, v71, -v5
	v_mul_f32_e32 v5, v44, v74
	v_mul_f32_e32 v28, v92, v36
	v_fma_f32 v51, v96, v73, -v5
	s_waitcnt vmcnt(2)
	v_mul_f32_e32 v5, v64, v76
	v_mul_f32_e32 v21, v38, v32
	v_fmac_f32_e32 v28, v42, v35
	v_fma_f32 v42, v98, v75, -v5
	v_mul_f32_e32 v5, v52, v78
	v_fmac_f32_e32 v21, v40, v31
	v_mul_f32_e32 v40, v69, v78
	v_fma_f32 v49, v69, v77, -v5
	s_waitcnt vmcnt(1)
	v_mul_f32_e32 v5, v88, v80
	v_fmac_f32_e32 v55, v53, v9
	v_fmac_f32_e32 v40, v52, v77
	v_fma_f32 v52, v100, v79, -v5
	v_mul_f32_e32 v53, v93, v82
	v_mul_f32_e32 v5, v59, v82
	;; [unrolled: 1-line block ×3, first 2 shown]
	v_fmac_f32_e32 v53, v59, v81
	v_fma_f32 v59, v93, v81, -v5
	s_waitcnt vmcnt(0)
	v_mul_f32_e32 v5, v90, v84
	v_fmac_f32_e32 v50, v39, v7
	v_fmac_f32_e32 v19, v63, v29
	v_fma_f32 v63, v102, v83, -v5
	v_mul_f32_e32 v5, v103, v86
	v_fma_f32 v69, v109, v85, -v5
	v_add_f32_e32 v5, v48, v66
	v_add_f32_e32 v7, v50, v62
	v_sub_f32_e32 v8, v56, v65
	v_add_f32_e32 v9, v55, v58
	v_sub_f32_e32 v10, v61, v57
	;; [unrolled: 2-line block ×3, first 2 shown]
	v_sub_f32_e32 v12, v7, v5
	v_sub_f32_e32 v5, v5, v9
	;; [unrolled: 1-line block ×3, first 2 shown]
	v_add_f32_e32 v18, v10, v8
	v_add_f32_e32 v9, v9, v11
	v_sub_f32_e32 v29, v10, v8
	v_sub_f32_e32 v10, v6, v10
	;; [unrolled: 1-line block ×3, first 2 shown]
	v_add_f32_e32 v6, v18, v6
	v_add_f32_e32 v18, v13, v9
	v_mul_f32_e32 v5, 0x3f4a47b2, v5
	v_mul_f32_e32 v11, 0x3d64c772, v7
	;; [unrolled: 1-line block ×3, first 2 shown]
	v_mov_b32_e32 v30, v18
	v_mul_f32_e32 v38, v101, v72
	v_mul_f32_e32 v43, v96, v74
	v_fmac_f32_e32 v30, 0xbf955555, v9
	v_fma_f32 v9, v12, s11, -v11
	v_fma_f32 v11, v12, s12, -v5
	v_fmac_f32_e32 v5, 0x3d64c772, v7
	v_fma_f32 v7, v8, s10, -v13
	v_fmac_f32_e32 v13, 0xbeae86e6, v10
	v_mul_f32_e32 v23, v99, v34
	v_fmac_f32_e32 v38, v89, v71
	v_fmac_f32_e32 v43, v44, v73
	v_mul_f32_e32 v29, 0xbf5ff5aa, v8
	v_add_f32_e32 v5, v5, v30
	v_add_f32_e32 v9, v9, v30
	v_fmac_f32_e32 v13, 0xbee1c552, v6
	v_fmac_f32_e32 v7, 0xbee1c552, v6
	;; [unrolled: 1-line block ×3, first 2 shown]
	v_fma_f32 v8, v10, s13, -v29
	v_add_f32_e32 v29, v13, v5
	v_sub_f32_e32 v31, v9, v7
	v_add_f32_e32 v32, v7, v9
	v_sub_f32_e32 v34, v5, v13
	v_add_f32_e32 v5, v19, v43
	v_add_f32_e32 v7, v21, v38
	;; [unrolled: 1-line block ×3, first 2 shown]
	v_fmac_f32_e32 v8, 0xbee1c552, v6
	v_add_f32_e32 v9, v23, v28
	v_add_f32_e32 v11, v7, v5
	;; [unrolled: 1-line block ×3, first 2 shown]
	v_sub_f32_e32 v33, v10, v8
	v_sub_f32_e32 v6, v22, v51
	;; [unrolled: 1-line block ×7, first 2 shown]
	v_add_f32_e32 v9, v9, v11
	v_add_f32_e32 v13, v10, v8
	v_sub_f32_e32 v35, v10, v8
	v_sub_f32_e32 v8, v8, v6
	v_add_f32_e32 v36, v14, v9
	v_mul_f32_e32 v39, v98, v76
	v_sub_f32_e32 v10, v6, v10
	v_add_f32_e32 v6, v13, v6
	v_mul_f32_e32 v5, 0x3f4a47b2, v5
	v_mul_f32_e32 v11, 0x3d64c772, v7
	;; [unrolled: 1-line block ×4, first 2 shown]
	v_mov_b32_e32 v35, v36
	v_fmac_f32_e32 v39, v64, v75
	v_mul_f32_e32 v60, v102, v84
	v_mul_f32_e32 v64, v109, v86
	v_fmac_f32_e32 v35, 0xbf955555, v9
	v_fma_f32 v9, v12, s11, -v11
	v_fma_f32 v11, v12, s12, -v5
	v_fmac_f32_e32 v5, 0x3d64c772, v7
	v_fma_f32 v7, v8, s10, -v13
	v_fmac_f32_e32 v13, 0xbeae86e6, v10
	v_fma_f32 v8, v10, s13, -v14
	v_mul_f32_e32 v44, v100, v80
	v_fmac_f32_e32 v60, v90, v83
	v_fmac_f32_e32 v64, v103, v85
	v_add_f32_e32 v10, v5, v35
	v_add_f32_e32 v5, v9, v35
	;; [unrolled: 1-line block ×3, first 2 shown]
	v_fmac_f32_e32 v13, 0xbee1c552, v6
	v_fmac_f32_e32 v7, 0xbee1c552, v6
	;; [unrolled: 1-line block ×4, first 2 shown]
	v_add_f32_e32 v35, v13, v10
	v_add_f32_e32 v73, v8, v9
	v_sub_f32_e32 v74, v5, v7
	v_add_f32_e32 v5, v7, v5
	v_sub_f32_e32 v6, v9, v8
	v_sub_f32_e32 v7, v10, v13
	v_add_f32_e32 v8, v39, v64
	v_add_f32_e32 v10, v40, v60
	v_sub_f32_e32 v11, v49, v63
	v_add_f32_e32 v12, v44, v53
	v_sub_f32_e32 v13, v59, v52
	;; [unrolled: 2-line block ×3, first 2 shown]
	v_sub_f32_e32 v71, v10, v8
	v_sub_f32_e32 v72, v8, v12
	;; [unrolled: 1-line block ×3, first 2 shown]
	v_add_f32_e32 v8, v13, v11
	v_add_f32_e32 v12, v12, v14
	v_sub_f32_e32 v75, v13, v11
	v_sub_f32_e32 v13, v9, v13
	;; [unrolled: 1-line block ×3, first 2 shown]
	v_add_f32_e32 v9, v8, v9
	v_add_f32_e32 v8, v17, v12
	v_mul_f32_e32 v14, 0x3f4a47b2, v72
	v_mul_f32_e32 v17, 0x3d64c772, v10
	;; [unrolled: 1-line block ×4, first 2 shown]
	v_mov_b32_e32 v76, v8
	v_fmac_f32_e32 v76, 0xbf955555, v12
	v_fma_f32 v12, v71, s11, -v17
	v_fma_f32 v17, v71, s12, -v14
	;; [unrolled: 1-line block ×3, first 2 shown]
	v_fmac_f32_e32 v72, 0xbeae86e6, v13
	v_fma_f32 v13, v13, s13, -v75
	v_add_f32_e32 v17, v17, v76
	v_fmac_f32_e32 v13, 0xbee1c552, v9
	v_fmac_f32_e32 v14, 0x3d64c772, v10
	v_add_f32_e32 v12, v12, v76
	v_fmac_f32_e32 v71, 0xbee1c552, v9
	v_add_f32_e32 v10, v13, v17
	v_sub_f32_e32 v13, v17, v13
	v_mul_u32_u24_e32 v17, 0x150, v47
	v_mov_b32_e32 v47, 2
	v_sub_f32_e32 v11, v12, v71
	v_add_f32_e32 v12, v71, v12
	v_lshlrev_b32_sdwa v71, v47, v104 dst_sel:DWORD dst_unused:UNUSED_PAD src0_sel:DWORD src1_sel:BYTE_0
	v_add3_u32 v71, 0, v17, v71
	v_add_f32_e32 v14, v14, v76
	v_fmac_f32_e32 v72, 0xbee1c552, v9
	ds_write2_b32 v71, v18, v29 offset1:12
	ds_write2_b32 v71, v30, v31 offset0:24 offset1:36
	ds_write2_b32 v71, v32, v33 offset0:48 offset1:60
	ds_write_b32 v71, v34 offset:288
	v_mul_u32_u24_e32 v17, 0x150, v105
	v_lshlrev_b32_sdwa v18, v47, v106 dst_sel:DWORD dst_unused:UNUSED_PAD src0_sel:DWORD src1_sel:BYTE_0
	v_add_f32_e32 v9, v72, v14
	v_sub_f32_e32 v14, v14, v72
	v_add3_u32 v72, 0, v17, v18
	v_mul_u32_u24_e32 v17, 0x150, v107
	v_lshlrev_b32_sdwa v18, v47, v108 dst_sel:DWORD dst_unused:UNUSED_PAD src0_sel:DWORD src1_sel:BYTE_0
	ds_write2_b32 v72, v36, v35 offset1:12
	ds_write2_b32 v72, v73, v74 offset0:24 offset1:36
	ds_write2_b32 v72, v5, v6 offset0:48 offset1:60
	ds_write_b32 v72, v7 offset:288
	v_add3_u32 v73, 0, v17, v18
	v_add_u32_e32 v74, 0x600, v68
	ds_write2_b32 v73, v8, v9 offset1:12
	ds_write2_b32 v73, v10, v11 offset0:24 offset1:36
	ds_write2_b32 v73, v12, v13 offset0:48 offset1:60
	ds_write_b32 v73, v14 offset:288
	s_waitcnt lgkmcnt(0)
	; wave barrier
	s_waitcnt lgkmcnt(0)
	ds_read2_b32 v[17:18], v68 offset1:84
	ds_read2_b32 v[33:34], v68 offset0:168 offset1:252
	ds_read2_b32 v[29:30], v27 offset0:80 offset1:164
	ds_read2_b32 v[31:32], v74 offset0:120 offset1:204
	ds_read2_b32 v[35:36], v26 offset0:160 offset1:244
	ds_read_b32 v47, v68 offset:3360
	s_and_saveexec_b64 s[6:7], s[2:3]
	s_cbranch_execz .LBB0_29
; %bb.28:
	v_add_u32_e32 v7, 0x200, v68
	v_add_u32_e32 v9, 0x400, v68
	;; [unrolled: 1-line block ×4, first 2 shown]
	ds_read2_b32 v[5:6], v68 offset0:44 offset1:128
	ds_read2_b32 v[7:8], v7 offset0:84 offset1:168
	;; [unrolled: 1-line block ×5, first 2 shown]
	ds_read_b32 v46, v68 offset:3536
.LBB0_29:
	s_or_b64 exec, exec, s[6:7]
	v_add_f32_e32 v26, v54, v70
	v_sub_f32_e32 v27, v48, v66
	v_add_f32_e32 v48, v56, v65
	v_add_f32_e32 v54, v57, v61
	;; [unrolled: 1-line block ×3, first 2 shown]
	v_sub_f32_e32 v50, v50, v62
	v_sub_f32_e32 v55, v58, v55
	v_sub_f32_e32 v57, v48, v26
	v_sub_f32_e32 v26, v26, v54
	v_sub_f32_e32 v48, v54, v48
	v_add_f32_e32 v54, v54, v56
	v_add_f32_e32 v58, v55, v50
	v_sub_f32_e32 v61, v55, v50
	v_sub_f32_e32 v50, v50, v27
	v_add_f32_e32 v56, v15, v54
	v_sub_f32_e32 v55, v27, v55
	v_add_f32_e32 v27, v58, v27
	v_mul_f32_e32 v15, 0x3f4a47b2, v26
	v_mul_f32_e32 v58, 0x3f08b237, v61
	;; [unrolled: 1-line block ×3, first 2 shown]
	v_mov_b32_e32 v62, v56
	v_mul_f32_e32 v26, 0x3d64c772, v48
	v_fmac_f32_e32 v62, 0xbf955555, v54
	v_fma_f32 v54, v57, s12, -v15
	v_fmac_f32_e32 v15, 0x3d64c772, v48
	v_fma_f32 v48, v50, s10, -v58
	;; [unrolled: 2-line block ×3, first 2 shown]
	v_add_f32_e32 v15, v15, v62
	v_add_f32_e32 v54, v54, v62
	v_fmac_f32_e32 v58, 0xbee1c552, v27
	v_fmac_f32_e32 v50, 0xbee1c552, v27
	v_fma_f32 v26, v57, s11, -v26
	v_fmac_f32_e32 v48, 0xbee1c552, v27
	v_sub_f32_e32 v27, v15, v58
	v_sub_f32_e32 v55, v54, v50
	v_add_f32_e32 v50, v50, v54
	v_add_f32_e32 v54, v58, v15
	;; [unrolled: 1-line block ×5, first 2 shown]
	v_sub_f32_e32 v21, v21, v38
	v_add_f32_e32 v24, v25, v37
	v_sub_f32_e32 v23, v28, v23
	v_add_f32_e32 v25, v22, v15
	v_add_f32_e32 v57, v48, v26
	v_sub_f32_e32 v48, v26, v48
	v_sub_f32_e32 v19, v19, v43
	;; [unrolled: 1-line block ×5, first 2 shown]
	v_add_f32_e32 v28, v23, v21
	v_add_f32_e32 v24, v24, v25
	v_sub_f32_e32 v37, v23, v21
	v_sub_f32_e32 v23, v19, v23
	;; [unrolled: 1-line block ×3, first 2 shown]
	v_add_f32_e32 v19, v28, v19
	v_add_f32_e32 v28, v16, v24
	v_mul_f32_e32 v15, 0x3f4a47b2, v15
	v_mul_f32_e32 v16, 0x3d64c772, v22
	;; [unrolled: 1-line block ×3, first 2 shown]
	v_mov_b32_e32 v38, v28
	v_mul_f32_e32 v37, 0xbf5ff5aa, v21
	v_fmac_f32_e32 v38, 0xbf955555, v24
	v_fma_f32 v16, v26, s11, -v16
	v_fma_f32 v24, v26, s12, -v15
	v_fmac_f32_e32 v15, 0x3d64c772, v22
	v_fma_f32 v21, v21, s10, -v25
	v_fmac_f32_e32 v25, 0xbeae86e6, v23
	v_fma_f32 v22, v23, s13, -v37
	v_add_f32_e32 v23, v15, v38
	v_add_f32_e32 v15, v16, v38
	v_fmac_f32_e32 v25, 0xbee1c552, v19
	v_fmac_f32_e32 v21, 0xbee1c552, v19
	v_add_f32_e32 v16, v24, v38
	v_fmac_f32_e32 v22, 0xbee1c552, v19
	v_sub_f32_e32 v37, v23, v25
	v_add_f32_e32 v41, v21, v15
	v_sub_f32_e32 v15, v15, v21
	v_add_f32_e32 v19, v25, v23
	v_add_f32_e32 v21, v42, v69
	;; [unrolled: 1-line block ×3, first 2 shown]
	v_sub_f32_e32 v38, v16, v22
	v_add_f32_e32 v16, v22, v16
	v_sub_f32_e32 v22, v39, v64
	v_add_f32_e32 v25, v52, v59
	v_add_f32_e32 v39, v23, v21
	v_sub_f32_e32 v24, v40, v60
	v_sub_f32_e32 v26, v53, v44
	;; [unrolled: 1-line block ×5, first 2 shown]
	v_add_f32_e32 v25, v25, v39
	v_add_f32_e32 v42, v26, v24
	v_sub_f32_e32 v43, v26, v24
	v_sub_f32_e32 v24, v24, v22
	v_add_f32_e32 v20, v20, v25
	v_sub_f32_e32 v26, v22, v26
	v_add_f32_e32 v22, v42, v22
	v_mul_f32_e32 v21, 0x3f4a47b2, v21
	v_mul_f32_e32 v39, 0x3d64c772, v23
	;; [unrolled: 1-line block ×4, first 2 shown]
	v_mov_b32_e32 v44, v20
	v_fmac_f32_e32 v44, 0xbf955555, v25
	v_fma_f32 v25, v40, s11, -v39
	v_fma_f32 v39, v40, s12, -v21
	v_fmac_f32_e32 v21, 0x3d64c772, v23
	v_fma_f32 v24, v24, s10, -v42
	v_fmac_f32_e32 v42, 0xbeae86e6, v26
	v_fma_f32 v26, v26, s13, -v43
	v_add_f32_e32 v40, v21, v44
	v_add_f32_e32 v25, v25, v44
	;; [unrolled: 1-line block ×3, first 2 shown]
	v_fmac_f32_e32 v42, 0xbee1c552, v22
	v_fmac_f32_e32 v24, 0xbee1c552, v22
	;; [unrolled: 1-line block ×3, first 2 shown]
	v_sub_f32_e32 v21, v40, v42
	v_sub_f32_e32 v22, v39, v26
	v_add_f32_e32 v23, v24, v25
	v_sub_f32_e32 v24, v25, v24
	v_add_f32_e32 v25, v26, v39
	v_add_f32_e32 v26, v42, v40
	s_waitcnt lgkmcnt(0)
	; wave barrier
	s_waitcnt lgkmcnt(0)
	ds_write2_b32 v71, v56, v27 offset1:12
	ds_write2_b32 v71, v55, v57 offset0:24 offset1:36
	ds_write2_b32 v71, v48, v50 offset0:48 offset1:60
	ds_write_b32 v71, v54 offset:288
	ds_write2_b32 v72, v28, v37 offset1:12
	ds_write2_b32 v72, v38, v41 offset0:24 offset1:36
	ds_write2_b32 v72, v15, v16 offset0:48 offset1:60
	ds_write_b32 v72, v19 offset:288
	;; [unrolled: 4-line block ×3, first 2 shown]
	v_add_u32_e32 v49, 0x400, v68
	v_add_u32_e32 v50, 0x800, v68
	s_waitcnt lgkmcnt(0)
	; wave barrier
	s_waitcnt lgkmcnt(0)
	ds_read2_b32 v[27:28], v68 offset1:84
	ds_read2_b32 v[41:42], v68 offset0:168 offset1:252
	ds_read2_b32 v[37:38], v49 offset0:80 offset1:164
	;; [unrolled: 1-line block ×4, first 2 shown]
	ds_read_b32 v48, v68 offset:3360
	s_and_saveexec_b64 s[6:7], s[2:3]
	s_cbranch_execz .LBB0_31
; %bb.30:
	v_add_u32_e32 v19, 0x200, v68
	ds_read2_b32 v[15:16], v68 offset0:44 offset1:128
	ds_read2_b32 v[19:20], v19 offset0:84 offset1:168
	;; [unrolled: 1-line block ×4, first 2 shown]
	v_add_u32_e32 v25, 0xa00, v68
	ds_read2_b32 v[25:26], v25 offset0:76 offset1:160
	ds_read_b32 v45, v68 offset:3536
.LBB0_31:
	s_or_b64 exec, exec, s[6:7]
	s_and_saveexec_b64 s[6:7], s[0:1]
	s_cbranch_execz .LBB0_34
; %bb.32:
	v_mul_u32_u24_e32 v49, 10, v67
	v_lshlrev_b32_e32 v65, 3, v49
	global_load_dwordx4 v[49:52], v65, s[8:9] offset:656
	global_load_dwordx4 v[53:56], v65, s[8:9] offset:720
	;; [unrolled: 1-line block ×5, first 2 shown]
	v_mul_lo_u32 v65, s5, v3
	v_mul_lo_u32 v66, s4, v4
	v_mad_u64_u32 v[3:4], s[0:1], s4, v3, 0
	s_mov_b32 s4, 0x3f575c64
	s_mov_b32 s1, 0x3ed4b147
	v_add3_u32 v4, v4, v66, v65
	s_mov_b32 s0, 0xbe11bafb
	s_mov_b32 s5, 0xbf27a4f4
	s_mov_b32 s6, 0xbf75a155
	s_mov_b32 s7, 0x30c30c31
	v_lshlrev_b64 v[3:4], 3, v[3:4]
	v_lshlrev_b64 v[1:2], 3, v[1:2]
	v_add_co_u32_e32 v3, vcc, s14, v3
	s_movk_i32 s10, 0x1000
	s_waitcnt vmcnt(4) lgkmcnt(5)
	v_mul_f32_e32 v65, v28, v50
	s_waitcnt vmcnt(3) lgkmcnt(0)
	v_mul_f32_e32 v66, v48, v56
	v_mul_f32_e32 v72, v41, v52
	v_mul_f32_e32 v73, v44, v54
	v_fmac_f32_e32 v65, v18, v49
	v_fmac_f32_e32 v66, v47, v55
	v_mul_f32_e32 v56, v47, v56
	v_mul_f32_e32 v50, v18, v50
	;; [unrolled: 1-line block ×4, first 2 shown]
	s_waitcnt vmcnt(2)
	v_mul_f32_e32 v74, v42, v58
	s_waitcnt vmcnt(1)
	v_mul_f32_e32 v75, v43, v64
	v_mul_f32_e32 v64, v35, v64
	;; [unrolled: 1-line block ×4, first 2 shown]
	v_fmac_f32_e32 v72, v33, v51
	v_fmac_f32_e32 v73, v36, v53
	v_sub_f32_e32 v36, v65, v66
	v_mul_f32_e32 v58, v34, v58
	v_mul_f32_e32 v77, v40, v62
	s_waitcnt vmcnt(0)
	v_mul_f32_e32 v78, v38, v69
	v_mul_f32_e32 v69, v30, v69
	v_fma_f32 v18, v48, v55, -v56
	v_fma_f32 v55, v28, v49, -v50
	;; [unrolled: 1-line block ×3, first 2 shown]
	v_fmac_f32_e32 v74, v34, v57
	v_fmac_f32_e32 v75, v35, v63
	v_fma_f32 v52, v43, v63, -v64
	v_fma_f32 v56, v37, v59, -v60
	v_sub_f32_e32 v37, v72, v73
	v_mul_f32_e32 v64, 0xbf0a6770, v36
	v_mul_f32_e32 v79, v39, v71
	;; [unrolled: 1-line block ×3, first 2 shown]
	v_fma_f32 v44, v44, v53, -v54
	v_fma_f32 v53, v42, v57, -v58
	v_fmac_f32_e32 v76, v29, v59
	v_fmac_f32_e32 v77, v32, v61
	;; [unrolled: 1-line block ×3, first 2 shown]
	v_fma_f32 v58, v38, v68, -v69
	v_add_f32_e32 v49, v55, v18
	v_sub_f32_e32 v38, v74, v75
	v_mul_f32_e32 v68, 0xbf68dda4, v37
	v_mov_b32_e32 v28, v64
	v_mul_f32_e32 v62, v32, v62
	v_fmac_f32_e32 v79, v31, v70
	v_fma_f32 v57, v39, v70, -v71
	v_add_f32_e32 v50, v51, v44
	v_sub_f32_e32 v39, v76, v77
	v_mul_f32_e32 v69, 0xbf7d64f0, v38
	v_mov_b32_e32 v29, v68
	v_fmac_f32_e32 v28, 0x3f575c64, v49
	v_fma_f32 v54, v40, v61, -v62
	v_add_f32_e32 v59, v53, v52
	v_sub_f32_e32 v40, v78, v79
	v_mul_f32_e32 v70, 0xbf4178ce, v39
	v_mov_b32_e32 v30, v69
	v_fmac_f32_e32 v29, 0x3ed4b147, v50
	v_add_f32_e32 v28, v27, v28
	v_add_f32_e32 v60, v56, v54
	v_sub_f32_e32 v41, v55, v18
	v_mul_f32_e32 v71, 0xbe903f40, v40
	v_mov_b32_e32 v31, v70
	v_fmac_f32_e32 v30, 0xbe11bafb, v59
	v_add_f32_e32 v28, v28, v29
	v_add_f32_e32 v61, v58, v57
	;; [unrolled: 1-line block ×3, first 2 shown]
	v_mul_f32_e32 v80, 0xbf0a6770, v41
	v_mov_b32_e32 v32, v71
	v_fmac_f32_e32 v31, 0xbf27a4f4, v60
	v_add_f32_e32 v28, v28, v30
	v_sub_f32_e32 v42, v51, v44
	v_add_f32_e32 v63, v72, v73
	v_fma_f32 v33, v62, s4, -v80
	v_fmac_f32_e32 v32, 0xbf75a155, v61
	v_add_f32_e32 v28, v28, v31
	v_mul_f32_e32 v81, 0xbf68dda4, v42
	v_sub_f32_e32 v43, v53, v52
	v_add_f32_e32 v33, v17, v33
	v_add_f32_e32 v29, v28, v32
	v_fma_f32 v28, v63, s1, -v81
	v_add_f32_e32 v82, v74, v75
	v_mul_f32_e32 v83, 0xbf7d64f0, v43
	v_sub_f32_e32 v47, v56, v54
	v_add_f32_e32 v28, v33, v28
	v_fma_f32 v30, v82, s0, -v83
	v_add_f32_e32 v84, v76, v77
	v_mul_f32_e32 v85, 0xbf4178ce, v47
	v_sub_f32_e32 v48, v58, v57
	v_add_f32_e32 v28, v28, v30
	v_fma_f32 v30, v84, s5, -v85
	v_add_f32_e32 v86, v78, v79
	v_mul_f32_e32 v87, 0xbe903f40, v48
	v_add_f32_e32 v28, v28, v30
	v_fma_f32 v30, v86, s6, -v87
	v_mul_f32_e32 v88, 0xbf68dda4, v36
	v_add_f32_e32 v28, v28, v30
	v_mov_b32_e32 v30, v88
	v_mul_f32_e32 v89, 0xbf4178ce, v37
	v_fmac_f32_e32 v30, 0x3ed4b147, v49
	v_mov_b32_e32 v31, v89
	v_add_f32_e32 v30, v27, v30
	v_fmac_f32_e32 v31, 0xbf27a4f4, v50
	v_mul_f32_e32 v90, 0x3e903f40, v38
	v_add_f32_e32 v30, v30, v31
	v_mov_b32_e32 v31, v90
	v_fmac_f32_e32 v31, 0xbf75a155, v59
	v_mul_f32_e32 v91, 0x3f7d64f0, v39
	v_add_f32_e32 v30, v30, v31
	v_mov_b32_e32 v31, v91
	v_fmac_f32_e32 v31, 0xbe11bafb, v60
	v_mul_f32_e32 v93, 0xbf68dda4, v41
	v_add_f32_e32 v30, v30, v31
	v_fma_f32 v31, v62, s1, -v93
	v_mul_f32_e32 v94, 0xbf4178ce, v42
	v_add_f32_e32 v31, v17, v31
	v_fma_f32 v32, v63, s5, -v94
	;; [unrolled: 3-line block ×3, first 2 shown]
	v_mul_f32_e32 v96, 0x3f7d64f0, v47
	v_mul_f32_e32 v92, 0x3f0a6770, v40
	v_add_f32_e32 v31, v31, v32
	v_fma_f32 v32, v84, s0, -v96
	v_add_f32_e32 v32, v31, v32
	v_mov_b32_e32 v31, v92
	v_fmac_f32_e32 v31, 0x3f575c64, v61
	v_mul_f32_e32 v97, 0x3f0a6770, v48
	v_add_f32_e32 v31, v30, v31
	v_fma_f32 v30, v86, s4, -v97
	v_mul_f32_e32 v98, 0xbf7d64f0, v36
	v_add_f32_e32 v30, v32, v30
	v_mov_b32_e32 v32, v98
	v_mul_f32_e32 v99, 0x3e903f40, v37
	v_fmac_f32_e32 v32, 0xbe11bafb, v49
	v_mov_b32_e32 v33, v99
	v_add_f32_e32 v32, v27, v32
	v_fmac_f32_e32 v33, 0xbf75a155, v50
	v_mul_f32_e32 v100, 0x3f68dda4, v38
	v_add_f32_e32 v32, v32, v33
	v_mov_b32_e32 v33, v100
	v_fmac_f32_e32 v33, 0x3ed4b147, v59
	v_mul_f32_e32 v101, 0xbf0a6770, v39
	v_add_f32_e32 v32, v32, v33
	v_mov_b32_e32 v33, v101
	v_fmac_f32_e32 v33, 0x3f575c64, v60
	v_mul_f32_e32 v102, 0xbf7d64f0, v41
	v_add_f32_e32 v32, v32, v33
	v_fma_f32 v33, v62, s0, -v102
	v_mul_f32_e32 v103, 0x3e903f40, v42
	v_add_f32_e32 v33, v17, v33
	v_fma_f32 v34, v63, s6, -v103
	;; [unrolled: 3-line block ×4, first 2 shown]
	v_mul_f32_e32 v106, 0xbf4178ce, v40
	v_add_f32_e32 v34, v33, v34
	v_mov_b32_e32 v33, v106
	v_fmac_f32_e32 v33, 0xbf27a4f4, v61
	v_mul_f32_e32 v107, 0xbf4178ce, v48
	v_add_f32_e32 v33, v32, v33
	v_fma_f32 v32, v86, s5, -v107
	v_mul_f32_e32 v108, 0xbf4178ce, v36
	v_add_f32_e32 v32, v34, v32
	v_mov_b32_e32 v34, v108
	v_mul_f32_e32 v109, 0x3f7d64f0, v37
	v_fmac_f32_e32 v34, 0xbf27a4f4, v49
	v_mov_b32_e32 v35, v109
	v_add_f32_e32 v34, v27, v34
	v_fmac_f32_e32 v35, 0xbe11bafb, v50
	v_mul_f32_e32 v110, 0xbf0a6770, v38
	v_add_f32_e32 v34, v34, v35
	v_mov_b32_e32 v35, v110
	v_fmac_f32_e32 v35, 0x3f575c64, v59
	v_mul_f32_e32 v111, 0xbe903f40, v39
	v_add_f32_e32 v34, v34, v35
	v_mov_b32_e32 v35, v111
	v_fmac_f32_e32 v35, 0xbf75a155, v60
	v_mul_f32_e32 v112, 0xbf4178ce, v41
	v_add_f32_e32 v34, v34, v35
	v_fma_f32 v35, v62, s5, -v112
	v_mul_f32_e32 v113, 0x3f7d64f0, v42
	v_add_f32_e32 v35, v17, v35
	v_fma_f32 v114, v63, s0, -v113
	v_add_f32_e32 v35, v35, v114
	v_mul_f32_e32 v114, 0xbf0a6770, v43
	v_fma_f32 v115, v82, s4, -v114
	v_add_f32_e32 v35, v35, v115
	v_mul_f32_e32 v115, 0xbe903f40, v47
	v_fma_f32 v116, v84, s6, -v115
	v_mul_f32_e32 v117, 0x3f68dda4, v40
	v_add_f32_e32 v116, v35, v116
	v_mov_b32_e32 v35, v117
	v_fmac_f32_e32 v35, 0x3ed4b147, v61
	v_mul_f32_e32 v118, 0x3f68dda4, v48
	v_add_f32_e32 v35, v34, v35
	v_fma_f32 v34, v86, s1, -v118
	v_add_f32_e32 v34, v116, v34
	v_mul_f32_e32 v116, 0xbe903f40, v36
	v_mov_b32_e32 v36, v116
	v_mul_f32_e32 v119, 0x3f0a6770, v37
	v_fmac_f32_e32 v36, 0xbf75a155, v49
	v_mov_b32_e32 v37, v119
	v_add_f32_e32 v36, v27, v36
	v_fmac_f32_e32 v37, 0x3f575c64, v50
	v_mul_f32_e32 v38, 0xbf4178ce, v38
	v_add_f32_e32 v36, v36, v37
	v_mov_b32_e32 v37, v38
	v_fmac_f32_e32 v37, 0xbf27a4f4, v59
	v_mul_f32_e32 v39, 0x3f68dda4, v39
	v_add_f32_e32 v36, v36, v37
	v_mov_b32_e32 v37, v39
	v_fmac_f32_e32 v37, 0x3ed4b147, v60
	v_mul_f32_e32 v41, 0xbe903f40, v41
	v_fma_f32 v116, v49, s6, -v116
	v_add_f32_e32 v36, v36, v37
	v_fma_f32 v37, v62, s6, -v41
	v_mul_f32_e32 v42, 0x3f0a6770, v42
	v_add_f32_e32 v116, v27, v116
	v_fma_f32 v119, v50, s4, -v119
	v_add_f32_e32 v37, v17, v37
	v_fma_f32 v120, v63, s4, -v42
	v_mul_f32_e32 v43, 0xbf4178ce, v43
	v_add_f32_e32 v116, v116, v119
	;; [unrolled: 5-line block ×3, first 2 shown]
	v_fma_f32 v39, v60, s1, -v39
	v_fmac_f32_e32 v41, 0xbf75a155, v62
	v_add_f32_e32 v37, v37, v120
	v_fma_f32 v120, v84, s1, -v47
	v_mul_f32_e32 v40, 0xbf7d64f0, v40
	v_add_f32_e32 v38, v38, v39
	v_add_f32_e32 v39, v17, v41
	v_fmac_f32_e32 v42, 0x3f575c64, v63
	v_add_f32_e32 v120, v37, v120
	v_mov_b32_e32 v37, v40
	v_add_f32_e32 v39, v39, v42
	v_fmac_f32_e32 v43, 0xbf27a4f4, v82
	v_fmac_f32_e32 v37, 0xbe11bafb, v61
	v_mul_f32_e32 v48, 0xbf7d64f0, v48
	v_add_f32_e32 v39, v39, v43
	v_fmac_f32_e32 v47, 0x3ed4b147, v84
	v_add_f32_e32 v37, v36, v37
	v_fma_f32 v36, v86, s0, -v48
	v_add_f32_e32 v41, v39, v47
	v_fma_f32 v39, v61, s0, -v40
	v_fmac_f32_e32 v48, 0xbe11bafb, v86
	v_fma_f32 v40, v49, s5, -v108
	v_add_f32_e32 v39, v38, v39
	v_add_f32_e32 v38, v41, v48
	;; [unrolled: 1-line block ×3, first 2 shown]
	v_fma_f32 v41, v50, s0, -v109
	v_add_f32_e32 v40, v40, v41
	v_fma_f32 v41, v59, s4, -v110
	v_add_f32_e32 v40, v40, v41
	v_fma_f32 v41, v60, s6, -v111
	v_fmac_f32_e32 v112, 0xbf27a4f4, v62
	v_add_f32_e32 v40, v40, v41
	v_add_f32_e32 v41, v17, v112
	v_fmac_f32_e32 v113, 0xbe11bafb, v63
	v_add_f32_e32 v41, v41, v113
	v_fmac_f32_e32 v114, 0x3f575c64, v82
	v_add_f32_e32 v41, v41, v114
	v_fmac_f32_e32 v115, 0xbf75a155, v84
	v_add_f32_e32 v42, v41, v115
	v_fma_f32 v41, v61, s1, -v117
	v_fmac_f32_e32 v118, 0x3ed4b147, v86
	v_add_f32_e32 v41, v40, v41
	v_add_f32_e32 v40, v42, v118
	v_fma_f32 v42, v49, s0, -v98
	v_add_f32_e32 v42, v27, v42
	v_fma_f32 v43, v50, s6, -v99
	;; [unrolled: 2-line block ×4, first 2 shown]
	v_fmac_f32_e32 v102, 0xbe11bafb, v62
	v_add_f32_e32 v42, v42, v43
	v_add_f32_e32 v43, v17, v102
	v_fmac_f32_e32 v103, 0xbf75a155, v63
	v_add_f32_e32 v43, v43, v103
	v_fmac_f32_e32 v104, 0x3ed4b147, v82
	;; [unrolled: 2-line block ×3, first 2 shown]
	v_add_f32_e32 v47, v43, v105
	v_fma_f32 v43, v61, s5, -v106
	v_fmac_f32_e32 v107, 0xbf27a4f4, v86
	v_add_f32_e32 v43, v42, v43
	v_add_f32_e32 v42, v47, v107
	v_fma_f32 v47, v49, s1, -v88
	v_fma_f32 v49, v49, s4, -v64
	v_add_f32_e32 v47, v27, v47
	v_add_f32_e32 v49, v27, v49
	;; [unrolled: 1-line block ×6, first 2 shown]
	v_fma_f32 v48, v50, s5, -v89
	v_fma_f32 v50, v50, s1, -v68
	v_add_f32_e32 v27, v27, v58
	v_add_f32_e32 v47, v47, v48
	v_fma_f32 v48, v59, s6, -v90
	v_add_f32_e32 v49, v49, v50
	v_fma_f32 v50, v59, s0, -v69
	v_add_f32_e32 v27, v27, v57
	v_add_f32_e32 v47, v47, v48
	v_fma_f32 v48, v60, s0, -v91
	v_add_f32_e32 v49, v49, v50
	v_fma_f32 v50, v60, s5, -v70
	v_add_f32_e32 v27, v54, v27
	v_add_f32_e32 v47, v47, v48
	v_fma_f32 v48, v61, s4, -v92
	v_fmac_f32_e32 v93, 0x3ed4b147, v62
	v_add_f32_e32 v49, v49, v50
	v_fma_f32 v50, v61, s6, -v71
	v_fmac_f32_e32 v80, 0x3f575c64, v62
	v_add_f32_e32 v27, v52, v27
	v_add_f32_e32 v48, v47, v48
	;; [unrolled: 1-line block ×9, first 2 shown]
	v_lshrrev_b32_e32 v18, 2, v67
	v_add_f32_e32 v17, v17, v74
	v_mul_hi_u32 v18, v18, s7
	v_add_f32_e32 v17, v17, v76
	v_add_f32_e32 v17, v17, v78
	;; [unrolled: 1-line block ×4, first 2 shown]
	v_lshrrev_b32_e32 v18, 2, v18
	s_movk_i32 s7, 0x54
	v_mul_lo_u32 v18, v18, s7
	v_add_f32_e32 v17, v75, v17
	v_add_f32_e32 v17, v73, v17
	;; [unrolled: 1-line block ×3, first 2 shown]
	v_mov_b32_e32 v17, s15
	v_addc_co_u32_e32 v17, vcc, v17, v4, vcc
	v_fmac_f32_e32 v94, 0xbf27a4f4, v63
	v_fmac_f32_e32 v81, 0x3ed4b147, v63
	v_sub_u32_e32 v18, v67, v18
	v_add_co_u32_e32 v4, vcc, v3, v1
	v_add_f32_e32 v47, v47, v94
	v_fmac_f32_e32 v95, 0xbf75a155, v82
	v_add_f32_e32 v49, v49, v81
	v_fmac_f32_e32 v83, 0xbe11bafb, v82
	v_addc_co_u32_e32 v17, vcc, v17, v2, vcc
	v_lshlrev_b32_e32 v1, 3, v18
	v_add_f32_e32 v47, v47, v95
	v_fmac_f32_e32 v96, 0xbe11bafb, v84
	v_add_f32_e32 v49, v49, v83
	v_fmac_f32_e32 v85, 0xbf27a4f4, v84
	v_add_co_u32_e32 v1, vcc, v4, v1
	v_add_f32_e32 v47, v47, v96
	v_fmac_f32_e32 v97, 0x3f575c64, v86
	v_add_f32_e32 v49, v49, v85
	v_fmac_f32_e32 v87, 0xbf75a155, v86
	v_addc_co_u32_e32 v2, vcc, 0, v17, vcc
	v_add_f32_e32 v36, v120, v36
	v_add_f32_e32 v47, v47, v97
	;; [unrolled: 1-line block ×3, first 2 shown]
	global_store_dwordx2 v[1:2], v[51:52], off
	global_store_dwordx2 v[1:2], v[49:50], off offset:672
	global_store_dwordx2 v[1:2], v[47:48], off offset:1344
	;; [unrolled: 1-line block ×6, first 2 shown]
	v_add_co_u32_e32 v1, vcc, s10, v1
	v_addc_co_u32_e32 v2, vcc, 0, v2, vcc
	global_store_dwordx2 v[1:2], v[34:35], off offset:608
	global_store_dwordx2 v[1:2], v[32:33], off offset:1280
	;; [unrolled: 1-line block ×4, first 2 shown]
	v_add_u32_e32 v2, 44, v67
	v_cmp_gt_u32_e32 vcc, s7, v2
	s_and_b64 exec, exec, vcc
	s_cbranch_execz .LBB0_34
; %bb.33:
	v_subrev_u32_e32 v1, 40, v67
	v_cndmask_b32_e64 v0, v1, v0, s[2:3]
	v_mul_i32_i24_e32 v0, 10, v0
	v_mov_b32_e32 v1, 0
	v_lshlrev_b64 v[27:28], 3, v[0:1]
	v_mov_b32_e32 v0, s9
	v_add_co_u32_e32 v43, vcc, s8, v27
	v_addc_co_u32_e32 v44, vcc, v0, v28, vcc
	global_load_dwordx4 v[27:30], v[43:44], off offset:656
	global_load_dwordx4 v[31:34], v[43:44], off offset:672
	;; [unrolled: 1-line block ×5, first 2 shown]
	s_waitcnt vmcnt(4)
	v_mul_f32_e32 v3, v6, v28
	v_mul_f32_e32 v0, v16, v28
	;; [unrolled: 1-line block ×3, first 2 shown]
	v_fma_f32 v3, v16, v27, -v3
	v_mul_f32_e32 v18, v19, v30
	s_waitcnt vmcnt(3)
	v_mul_f32_e32 v30, v20, v32
	v_mul_f32_e32 v32, v8, v32
	v_fma_f32 v16, v19, v29, -v28
	v_add_f32_e32 v19, v15, v3
	v_mul_f32_e32 v43, v21, v34
	v_mul_f32_e32 v34, v9, v34
	v_fmac_f32_e32 v30, v8, v31
	v_fma_f32 v8, v20, v31, -v32
	v_add_f32_e32 v19, v19, v16
	s_waitcnt vmcnt(2)
	v_mul_f32_e32 v44, v22, v36
	v_mul_f32_e32 v36, v10, v36
	v_fmac_f32_e32 v43, v9, v33
	v_fma_f32 v9, v21, v33, -v34
	v_add_f32_e32 v19, v19, v8
	v_mul_f32_e32 v51, v23, v38
	v_mul_f32_e32 v38, v11, v38
	v_fmac_f32_e32 v44, v10, v35
	v_fma_f32 v10, v22, v35, -v36
	v_add_f32_e32 v19, v19, v9
	s_waitcnt vmcnt(1)
	v_mul_f32_e32 v52, v24, v40
	v_mul_f32_e32 v40, v12, v40
	s_waitcnt vmcnt(0)
	v_mul_f32_e32 v55, v45, v50
	v_mul_f32_e32 v50, v46, v50
	v_fmac_f32_e32 v51, v11, v37
	v_fma_f32 v11, v23, v37, -v38
	v_add_f32_e32 v19, v19, v10
	v_mul_f32_e32 v53, v25, v42
	v_mul_f32_e32 v42, v13, v42
	v_fmac_f32_e32 v18, v7, v29
	v_fmac_f32_e32 v52, v12, v39
	v_fma_f32 v12, v24, v39, -v40
	v_fma_f32 v7, v45, v49, -v50
	v_add_f32_e32 v19, v19, v11
	v_mul_f32_e32 v54, v26, v48
	v_mul_f32_e32 v48, v14, v48
	v_fmac_f32_e32 v0, v6, v27
	v_fmac_f32_e32 v53, v13, v41
	v_fma_f32 v13, v25, v41, -v42
	v_fmac_f32_e32 v55, v46, v49
	v_add_f32_e32 v21, v3, v7
	v_sub_f32_e32 v3, v3, v7
	v_add_f32_e32 v19, v19, v12
	v_fmac_f32_e32 v54, v14, v47
	v_fma_f32 v14, v26, v47, -v48
	v_add_f32_e32 v20, v0, v55
	v_mul_f32_e32 v24, 0xbf68dda4, v3
	v_add_f32_e32 v19, v19, v13
	v_mul_f32_e32 v23, 0x3f575c64, v21
	v_mul_f32_e32 v25, 0x3ed4b147, v21
	v_fma_f32 v28, v20, s1, -v24
	v_add_f32_e32 v19, v19, v14
	v_mul_f32_e32 v32, 0xbe11bafb, v21
	v_mul_f32_e32 v36, 0xbf27a4f4, v21
	;; [unrolled: 1-line block ×3, first 2 shown]
	v_add_f32_e32 v6, v5, v0
	v_sub_f32_e32 v0, v0, v55
	v_mul_f32_e32 v22, 0xbf0a6770, v3
	v_mov_b32_e32 v27, v23
	v_mov_b32_e32 v29, v25
	v_add_f32_e32 v7, v19, v7
	v_add_f32_e32 v19, v5, v28
	v_mul_f32_e32 v28, 0xbf7d64f0, v3
	v_mov_b32_e32 v33, v32
	v_mul_f32_e32 v34, 0xbf4178ce, v3
	v_mov_b32_e32 v37, v36
	v_mul_f32_e32 v3, 0xbe903f40, v3
	v_mov_b32_e32 v39, v21
	v_fmac_f32_e32 v23, 0xbf0a6770, v0
	v_fmac_f32_e32 v27, 0x3f0a6770, v0
	;; [unrolled: 1-line block ×8, first 2 shown]
	v_mov_b32_e32 v38, v3
	v_fmac_f32_e32 v39, 0x3e903f40, v0
	v_fmac_f32_e32 v21, 0xbe903f40, v0
	v_fma_f32 v26, v20, s4, -v22
	v_fmac_f32_e32 v22, 0x3f575c64, v20
	v_fmac_f32_e32 v24, 0x3ed4b147, v20
	v_add_f32_e32 v23, v15, v23
	v_add_f32_e32 v27, v15, v27
	;; [unrolled: 1-line block ×4, first 2 shown]
	v_fma_f32 v31, v20, s0, -v28
	v_fmac_f32_e32 v28, 0xbe11bafb, v20
	v_add_f32_e32 v33, v15, v33
	v_add_f32_e32 v32, v15, v32
	v_fma_f32 v35, v20, s5, -v34
	v_fmac_f32_e32 v34, 0xbf27a4f4, v20
	v_add_f32_e32 v37, v15, v37
	v_add_f32_e32 v36, v15, v36
	v_fmac_f32_e32 v38, 0xbf75a155, v20
	v_add_f32_e32 v39, v15, v39
	v_fma_f32 v3, v20, s6, -v3
	v_add_f32_e32 v0, v15, v21
	v_add_f32_e32 v15, v16, v14
	v_sub_f32_e32 v14, v16, v14
	v_add_f32_e32 v22, v5, v22
	v_add_f32_e32 v26, v5, v26
	v_add_f32_e32 v24, v5, v24
	v_add_f32_e32 v28, v5, v28
	v_add_f32_e32 v31, v5, v31
	v_add_f32_e32 v34, v5, v34
	v_add_f32_e32 v35, v5, v35
	v_add_f32_e32 v38, v5, v38
	v_add_f32_e32 v3, v5, v3
	v_add_f32_e32 v5, v18, v54
	v_mul_f32_e32 v16, 0xbf68dda4, v14
	v_add_f32_e32 v6, v6, v18
	v_sub_f32_e32 v18, v18, v54
	v_fma_f32 v20, v5, s1, -v16
	v_fmac_f32_e32 v16, 0x3ed4b147, v5
	v_mul_f32_e32 v21, 0x3ed4b147, v15
	v_add_f32_e32 v16, v16, v22
	v_mov_b32_e32 v22, v21
	v_fmac_f32_e32 v21, 0xbf68dda4, v18
	v_add_f32_e32 v21, v21, v23
	v_mul_f32_e32 v23, 0xbf4178ce, v14
	v_add_f32_e32 v20, v20, v26
	v_fma_f32 v26, v5, s5, -v23
	v_fmac_f32_e32 v23, 0xbf27a4f4, v5
	v_fmac_f32_e32 v22, 0x3f68dda4, v18
	v_add_f32_e32 v23, v23, v24
	v_mul_f32_e32 v24, 0xbf27a4f4, v15
	v_add_f32_e32 v22, v22, v27
	v_mov_b32_e32 v27, v24
	v_fmac_f32_e32 v24, 0xbf4178ce, v18
	v_add_f32_e32 v24, v24, v25
	v_mul_f32_e32 v25, 0x3e903f40, v14
	v_add_f32_e32 v19, v26, v19
	v_fma_f32 v26, v5, s6, -v25
	v_fmac_f32_e32 v25, 0xbf75a155, v5
	v_fmac_f32_e32 v27, 0x3f4178ce, v18
	v_add_f32_e32 v25, v25, v28
	v_mul_f32_e32 v28, 0xbf75a155, v15
	v_add_f32_e32 v27, v27, v29
	v_mov_b32_e32 v29, v28
	v_add_f32_e32 v26, v26, v31
	v_fmac_f32_e32 v28, 0x3e903f40, v18
	v_mul_f32_e32 v31, 0x3f7d64f0, v14
	v_fmac_f32_e32 v29, 0xbe903f40, v18
	v_add_f32_e32 v28, v28, v32
	v_fma_f32 v32, v5, s0, -v31
	v_mul_f32_e32 v14, 0x3f0a6770, v14
	v_add_f32_e32 v29, v29, v33
	v_fmac_f32_e32 v31, 0xbe11bafb, v5
	v_mul_f32_e32 v33, 0xbe11bafb, v15
	v_add_f32_e32 v32, v32, v35
	v_mov_b32_e32 v35, v14
	v_add_f32_e32 v31, v31, v34
	v_mov_b32_e32 v34, v33
	v_fmac_f32_e32 v33, 0x3f7d64f0, v18
	v_fmac_f32_e32 v35, 0x3f575c64, v5
	v_mul_f32_e32 v15, 0x3f575c64, v15
	v_fma_f32 v5, v5, s4, -v14
	v_add_f32_e32 v14, v8, v13
	v_sub_f32_e32 v8, v8, v13
	v_add_f32_e32 v33, v33, v36
	v_mov_b32_e32 v36, v15
	v_add_f32_e32 v3, v5, v3
	v_add_f32_e32 v5, v30, v53
	v_mul_f32_e32 v13, 0xbf7d64f0, v8
	v_fmac_f32_e32 v34, 0xbf7d64f0, v18
	v_fmac_f32_e32 v36, 0xbf0a6770, v18
	;; [unrolled: 1-line block ×3, first 2 shown]
	v_fma_f32 v18, v5, s0, -v13
	v_fmac_f32_e32 v13, 0xbe11bafb, v5
	v_add_f32_e32 v0, v15, v0
	v_sub_f32_e32 v15, v30, v53
	v_add_f32_e32 v13, v13, v16
	v_mul_f32_e32 v16, 0xbe11bafb, v14
	v_add_f32_e32 v6, v6, v30
	v_mov_b32_e32 v30, v16
	v_add_f32_e32 v18, v18, v20
	v_fmac_f32_e32 v16, 0xbf7d64f0, v15
	v_mul_f32_e32 v20, 0x3e903f40, v8
	v_add_f32_e32 v16, v16, v21
	v_fma_f32 v21, v5, s6, -v20
	v_fmac_f32_e32 v20, 0xbf75a155, v5
	v_fmac_f32_e32 v30, 0x3f7d64f0, v15
	v_add_f32_e32 v20, v20, v23
	v_mul_f32_e32 v23, 0xbf75a155, v14
	v_add_f32_e32 v22, v30, v22
	v_mov_b32_e32 v30, v23
	v_fmac_f32_e32 v23, 0x3e903f40, v15
	v_add_f32_e32 v19, v21, v19
	v_add_f32_e32 v21, v23, v24
	v_mul_f32_e32 v23, 0x3f68dda4, v8
	v_fma_f32 v24, v5, s1, -v23
	v_fmac_f32_e32 v23, 0x3ed4b147, v5
	v_fmac_f32_e32 v30, 0xbe903f40, v15
	v_add_f32_e32 v23, v23, v25
	v_mul_f32_e32 v25, 0x3ed4b147, v14
	v_add_f32_e32 v27, v30, v27
	v_mov_b32_e32 v30, v25
	v_add_f32_e32 v24, v24, v26
	v_fmac_f32_e32 v25, 0x3f68dda4, v15
	v_mul_f32_e32 v26, 0xbf0a6770, v8
	v_fmac_f32_e32 v30, 0xbf68dda4, v15
	v_add_f32_e32 v25, v25, v28
	v_fma_f32 v28, v5, s4, -v26
	v_mul_f32_e32 v8, 0xbf4178ce, v8
	v_add_f32_e32 v29, v30, v29
	v_fmac_f32_e32 v26, 0x3f575c64, v5
	v_mul_f32_e32 v30, 0x3f575c64, v14
	v_add_f32_e32 v28, v28, v32
	v_mov_b32_e32 v32, v8
	v_add_f32_e32 v26, v26, v31
	v_mov_b32_e32 v31, v30
	v_fmac_f32_e32 v30, 0xbf0a6770, v15
	v_fmac_f32_e32 v32, 0xbf27a4f4, v5
	v_mul_f32_e32 v14, 0xbf27a4f4, v14
	v_fma_f32 v5, v5, s5, -v8
	v_add_f32_e32 v8, v9, v12
	v_sub_f32_e32 v9, v9, v12
	v_add_f32_e32 v30, v30, v33
	v_mov_b32_e32 v33, v14
	v_add_f32_e32 v3, v5, v3
	v_add_f32_e32 v5, v43, v52
	v_mul_f32_e32 v12, 0xbf4178ce, v9
	v_fmac_f32_e32 v31, 0x3f0a6770, v15
	v_fmac_f32_e32 v33, 0x3f4178ce, v15
	;; [unrolled: 1-line block ×3, first 2 shown]
	v_fma_f32 v15, v5, s5, -v12
	v_fmac_f32_e32 v12, 0xbf27a4f4, v5
	v_add_f32_e32 v34, v34, v37
	v_add_f32_e32 v0, v14, v0
	v_sub_f32_e32 v14, v43, v52
	v_add_f32_e32 v12, v12, v13
	v_mul_f32_e32 v13, 0xbf27a4f4, v8
	v_add_f32_e32 v31, v31, v34
	v_mov_b32_e32 v34, v13
	v_fmac_f32_e32 v13, 0xbf4178ce, v14
	v_add_f32_e32 v13, v13, v16
	v_mul_f32_e32 v16, 0x3f7d64f0, v9
	v_add_f32_e32 v15, v15, v18
	v_fma_f32 v18, v5, s0, -v16
	v_fmac_f32_e32 v16, 0xbe11bafb, v5
	v_fmac_f32_e32 v34, 0x3f4178ce, v14
	v_add_f32_e32 v16, v16, v20
	v_mul_f32_e32 v20, 0xbe11bafb, v8
	v_add_f32_e32 v22, v34, v22
	v_mov_b32_e32 v34, v20
	v_fmac_f32_e32 v20, 0x3f7d64f0, v14
	v_add_f32_e32 v18, v18, v19
	v_add_f32_e32 v19, v20, v21
	v_mul_f32_e32 v20, 0xbf0a6770, v9
	v_fma_f32 v21, v5, s4, -v20
	v_fmac_f32_e32 v20, 0x3f575c64, v5
	v_fmac_f32_e32 v34, 0xbf7d64f0, v14
	v_add_f32_e32 v20, v20, v23
	v_mul_f32_e32 v23, 0x3f575c64, v8
	v_add_f32_e32 v27, v34, v27
	v_mov_b32_e32 v34, v23
	v_add_f32_e32 v21, v21, v24
	v_fmac_f32_e32 v23, 0xbf0a6770, v14
	v_mul_f32_e32 v24, 0xbe903f40, v9
	v_add_f32_e32 v23, v23, v25
	v_fma_f32 v25, v5, s6, -v24
	v_fmac_f32_e32 v24, 0xbf75a155, v5
	v_fmac_f32_e32 v34, 0x3f0a6770, v14
	v_add_f32_e32 v24, v24, v26
	v_mul_f32_e32 v26, 0xbf75a155, v8
	v_add_f32_e32 v29, v34, v29
	v_mov_b32_e32 v34, v26
	v_mul_f32_e32 v9, 0x3f68dda4, v9
	v_fmac_f32_e32 v34, 0x3e903f40, v14
	v_add_f32_e32 v25, v25, v28
	v_fmac_f32_e32 v26, 0xbe903f40, v14
	v_mov_b32_e32 v28, v9
	v_mul_f32_e32 v8, 0x3ed4b147, v8
	v_add_f32_e32 v35, v35, v38
	v_add_f32_e32 v31, v34, v31
	v_add_f32_e32 v26, v26, v30
	v_fmac_f32_e32 v28, 0x3ed4b147, v5
	v_mov_b32_e32 v30, v8
	v_fma_f32 v5, v5, s1, -v9
	v_fmac_f32_e32 v8, 0x3f68dda4, v14
	v_sub_f32_e32 v34, v10, v11
	v_add_f32_e32 v32, v32, v35
	v_add_f32_e32 v3, v5, v3
	;; [unrolled: 1-line block ×4, first 2 shown]
	v_mul_f32_e32 v8, 0xbe903f40, v34
	v_add_f32_e32 v36, v36, v39
	v_add_f32_e32 v28, v28, v32
	;; [unrolled: 1-line block ×3, first 2 shown]
	v_fma_f32 v10, v5, s6, -v8
	v_fmac_f32_e32 v8, 0xbf75a155, v5
	v_add_f32_e32 v33, v33, v36
	v_fmac_f32_e32 v30, 0xbf68dda4, v14
	v_add_f32_e32 v8, v8, v12
	v_mul_f32_e32 v11, 0xbf75a155, v32
	v_mul_f32_e32 v12, 0x3f0a6770, v34
	v_add_f32_e32 v30, v30, v33
	v_sub_f32_e32 v33, v44, v51
	v_mov_b32_e32 v9, v11
	v_fma_f32 v14, v5, s4, -v12
	v_fmac_f32_e32 v12, 0x3f575c64, v5
	v_fmac_f32_e32 v9, 0x3e903f40, v33
	v_add_f32_e32 v12, v12, v16
	v_mul_f32_e32 v16, 0xbf4178ce, v34
	v_add_f32_e32 v9, v9, v22
	v_add_f32_e32 v10, v10, v15
	v_fmac_f32_e32 v11, 0xbe903f40, v33
	v_mul_f32_e32 v15, 0x3f575c64, v32
	v_fma_f32 v22, v5, s5, -v16
	v_fmac_f32_e32 v16, 0xbf27a4f4, v5
	v_add_f32_e32 v11, v11, v13
	v_mov_b32_e32 v13, v15
	v_add_f32_e32 v14, v14, v18
	v_fmac_f32_e32 v15, 0x3f0a6770, v33
	v_add_f32_e32 v18, v16, v20
	v_mul_f32_e32 v16, 0xbf27a4f4, v32
	v_add_f32_e32 v15, v15, v19
	v_mov_b32_e32 v19, v16
	v_fmac_f32_e32 v16, 0xbf4178ce, v33
	v_fmac_f32_e32 v13, 0xbf0a6770, v33
	v_add_f32_e32 v20, v22, v21
	v_add_f32_e32 v21, v16, v23
	v_mul_f32_e32 v16, 0x3f68dda4, v34
	v_add_f32_e32 v13, v13, v27
	v_fma_f32 v27, v5, s1, -v16
	v_fmac_f32_e32 v16, 0x3ed4b147, v5
	v_add_f32_e32 v22, v16, v24
	v_mul_f32_e32 v16, 0x3ed4b147, v32
	v_mov_b32_e32 v23, v16
	v_fmac_f32_e32 v16, 0x3f68dda4, v33
	v_add_f32_e32 v24, v27, v25
	v_add_f32_e32 v25, v16, v26
	v_mul_f32_e32 v16, 0xbf7d64f0, v34
	v_add_f32_e32 v6, v6, v43
	v_mov_b32_e32 v26, v16
	v_add_f32_e32 v6, v6, v44
	v_fmac_f32_e32 v26, 0xbe11bafb, v5
	v_fma_f32 v5, v5, s0, -v16
	v_add_f32_e32 v6, v6, v51
	v_add_f32_e32 v26, v26, v28
	;; [unrolled: 1-line block ×3, first 2 shown]
	v_mov_b32_e32 v3, v1
	v_add_f32_e32 v6, v6, v52
	v_fmac_f32_e32 v19, 0x3f4178ce, v33
	v_lshlrev_b64 v[2:3], 3, v[2:3]
	v_add_f32_e32 v6, v6, v53
	v_add_f32_e32 v19, v19, v29
	v_mul_f32_e32 v29, 0xbe11bafb, v32
	v_add_f32_e32 v6, v6, v54
	v_mov_b32_e32 v27, v29
	v_fmac_f32_e32 v29, 0xbf7d64f0, v33
	v_add_co_u32_e32 v2, vcc, v4, v2
	v_add_f32_e32 v6, v6, v55
	v_add_f32_e32 v29, v29, v0
	v_addc_co_u32_e32 v3, vcc, v17, v3, vcc
	v_add_u32_e32 v0, 0x80, v67
	global_store_dwordx2 v[2:3], v[6:7], off
	v_lshlrev_b64 v[2:3], 3, v[0:1]
	v_add_u32_e32 v0, 0xd4, v67
	v_add_co_u32_e32 v2, vcc, v4, v2
	v_addc_co_u32_e32 v3, vcc, v17, v3, vcc
	global_store_dwordx2 v[2:3], v[8:9], off
	v_lshlrev_b64 v[2:3], 3, v[0:1]
	v_add_u32_e32 v0, 0x128, v67
	v_add_co_u32_e32 v2, vcc, v4, v2
	v_addc_co_u32_e32 v3, vcc, v17, v3, vcc
	;; [unrolled: 5-line block ×3, first 2 shown]
	global_store_dwordx2 v[2:3], v[18:19], off
	v_lshlrev_b64 v[2:3], 3, v[0:1]
	v_fmac_f32_e32 v23, 0xbf68dda4, v33
	v_add_co_u32_e32 v2, vcc, v4, v2
	v_add_f32_e32 v23, v23, v31
	v_addc_co_u32_e32 v3, vcc, v17, v3, vcc
	v_add_u32_e32 v0, 0x1d0, v67
	global_store_dwordx2 v[2:3], v[22:23], off
	v_lshlrev_b64 v[2:3], 3, v[0:1]
	v_fmac_f32_e32 v27, 0x3f7d64f0, v33
	v_add_co_u32_e32 v2, vcc, v4, v2
	v_add_f32_e32 v27, v27, v30
	v_addc_co_u32_e32 v3, vcc, v17, v3, vcc
	v_add_u32_e32 v0, 0x224, v67
	global_store_dwordx2 v[2:3], v[26:27], off
	v_lshlrev_b64 v[2:3], 3, v[0:1]
	v_add_u32_e32 v0, 0x278, v67
	v_add_co_u32_e32 v2, vcc, v4, v2
	v_addc_co_u32_e32 v3, vcc, v17, v3, vcc
	global_store_dwordx2 v[2:3], v[28:29], off
	v_lshlrev_b64 v[2:3], 3, v[0:1]
	v_add_u32_e32 v0, 0x2cc, v67
	v_add_co_u32_e32 v2, vcc, v4, v2
	v_addc_co_u32_e32 v3, vcc, v17, v3, vcc
	;; [unrolled: 5-line block ×3, first 2 shown]
	global_store_dwordx2 v[2:3], v[20:21], off
	v_lshlrev_b64 v[2:3], 3, v[0:1]
	v_add_u32_e32 v0, 0x374, v67
	v_add_co_u32_e32 v2, vcc, v4, v2
	v_lshlrev_b64 v[0:1], 3, v[0:1]
	v_addc_co_u32_e32 v3, vcc, v17, v3, vcc
	v_add_co_u32_e32 v0, vcc, v4, v0
	v_addc_co_u32_e32 v1, vcc, v17, v1, vcc
	global_store_dwordx2 v[2:3], v[14:15], off
	global_store_dwordx2 v[0:1], v[10:11], off
.LBB0_34:
	s_endpgm
	.section	.rodata,"a",@progbits
	.p2align	6, 0x0
	.amdhsa_kernel fft_rtc_back_len924_factors_2_2_3_7_11_wgs_44_tpt_44_halfLds_sp_op_CI_CI_unitstride_sbrr_dirReg
		.amdhsa_group_segment_fixed_size 0
		.amdhsa_private_segment_fixed_size 0
		.amdhsa_kernarg_size 104
		.amdhsa_user_sgpr_count 6
		.amdhsa_user_sgpr_private_segment_buffer 1
		.amdhsa_user_sgpr_dispatch_ptr 0
		.amdhsa_user_sgpr_queue_ptr 0
		.amdhsa_user_sgpr_kernarg_segment_ptr 1
		.amdhsa_user_sgpr_dispatch_id 0
		.amdhsa_user_sgpr_flat_scratch_init 0
		.amdhsa_user_sgpr_private_segment_size 0
		.amdhsa_uses_dynamic_stack 0
		.amdhsa_system_sgpr_private_segment_wavefront_offset 0
		.amdhsa_system_sgpr_workgroup_id_x 1
		.amdhsa_system_sgpr_workgroup_id_y 0
		.amdhsa_system_sgpr_workgroup_id_z 0
		.amdhsa_system_sgpr_workgroup_info 0
		.amdhsa_system_vgpr_workitem_id 0
		.amdhsa_next_free_vgpr 121
		.amdhsa_next_free_sgpr 28
		.amdhsa_reserve_vcc 1
		.amdhsa_reserve_flat_scratch 0
		.amdhsa_float_round_mode_32 0
		.amdhsa_float_round_mode_16_64 0
		.amdhsa_float_denorm_mode_32 3
		.amdhsa_float_denorm_mode_16_64 3
		.amdhsa_dx10_clamp 1
		.amdhsa_ieee_mode 1
		.amdhsa_fp16_overflow 0
		.amdhsa_exception_fp_ieee_invalid_op 0
		.amdhsa_exception_fp_denorm_src 0
		.amdhsa_exception_fp_ieee_div_zero 0
		.amdhsa_exception_fp_ieee_overflow 0
		.amdhsa_exception_fp_ieee_underflow 0
		.amdhsa_exception_fp_ieee_inexact 0
		.amdhsa_exception_int_div_zero 0
	.end_amdhsa_kernel
	.text
.Lfunc_end0:
	.size	fft_rtc_back_len924_factors_2_2_3_7_11_wgs_44_tpt_44_halfLds_sp_op_CI_CI_unitstride_sbrr_dirReg, .Lfunc_end0-fft_rtc_back_len924_factors_2_2_3_7_11_wgs_44_tpt_44_halfLds_sp_op_CI_CI_unitstride_sbrr_dirReg
                                        ; -- End function
	.section	.AMDGPU.csdata,"",@progbits
; Kernel info:
; codeLenInByte = 12608
; NumSgprs: 32
; NumVgprs: 121
; ScratchSize: 0
; MemoryBound: 0
; FloatMode: 240
; IeeeMode: 1
; LDSByteSize: 0 bytes/workgroup (compile time only)
; SGPRBlocks: 3
; VGPRBlocks: 30
; NumSGPRsForWavesPerEU: 32
; NumVGPRsForWavesPerEU: 121
; Occupancy: 2
; WaveLimiterHint : 1
; COMPUTE_PGM_RSRC2:SCRATCH_EN: 0
; COMPUTE_PGM_RSRC2:USER_SGPR: 6
; COMPUTE_PGM_RSRC2:TRAP_HANDLER: 0
; COMPUTE_PGM_RSRC2:TGID_X_EN: 1
; COMPUTE_PGM_RSRC2:TGID_Y_EN: 0
; COMPUTE_PGM_RSRC2:TGID_Z_EN: 0
; COMPUTE_PGM_RSRC2:TIDIG_COMP_CNT: 0
	.type	__hip_cuid_4fad89a10d342c16,@object ; @__hip_cuid_4fad89a10d342c16
	.section	.bss,"aw",@nobits
	.globl	__hip_cuid_4fad89a10d342c16
__hip_cuid_4fad89a10d342c16:
	.byte	0                               ; 0x0
	.size	__hip_cuid_4fad89a10d342c16, 1

	.ident	"AMD clang version 19.0.0git (https://github.com/RadeonOpenCompute/llvm-project roc-6.4.0 25133 c7fe45cf4b819c5991fe208aaa96edf142730f1d)"
	.section	".note.GNU-stack","",@progbits
	.addrsig
	.addrsig_sym __hip_cuid_4fad89a10d342c16
	.amdgpu_metadata
---
amdhsa.kernels:
  - .args:
      - .actual_access:  read_only
        .address_space:  global
        .offset:         0
        .size:           8
        .value_kind:     global_buffer
      - .offset:         8
        .size:           8
        .value_kind:     by_value
      - .actual_access:  read_only
        .address_space:  global
        .offset:         16
        .size:           8
        .value_kind:     global_buffer
      - .actual_access:  read_only
        .address_space:  global
        .offset:         24
        .size:           8
        .value_kind:     global_buffer
      - .actual_access:  read_only
        .address_space:  global
        .offset:         32
        .size:           8
        .value_kind:     global_buffer
      - .offset:         40
        .size:           8
        .value_kind:     by_value
      - .actual_access:  read_only
        .address_space:  global
        .offset:         48
        .size:           8
        .value_kind:     global_buffer
      - .actual_access:  read_only
        .address_space:  global
        .offset:         56
        .size:           8
        .value_kind:     global_buffer
      - .offset:         64
        .size:           4
        .value_kind:     by_value
      - .actual_access:  read_only
        .address_space:  global
        .offset:         72
        .size:           8
        .value_kind:     global_buffer
      - .actual_access:  read_only
        .address_space:  global
        .offset:         80
        .size:           8
        .value_kind:     global_buffer
      - .actual_access:  read_only
        .address_space:  global
        .offset:         88
        .size:           8
        .value_kind:     global_buffer
      - .actual_access:  write_only
        .address_space:  global
        .offset:         96
        .size:           8
        .value_kind:     global_buffer
    .group_segment_fixed_size: 0
    .kernarg_segment_align: 8
    .kernarg_segment_size: 104
    .language:       OpenCL C
    .language_version:
      - 2
      - 0
    .max_flat_workgroup_size: 44
    .name:           fft_rtc_back_len924_factors_2_2_3_7_11_wgs_44_tpt_44_halfLds_sp_op_CI_CI_unitstride_sbrr_dirReg
    .private_segment_fixed_size: 0
    .sgpr_count:     32
    .sgpr_spill_count: 0
    .symbol:         fft_rtc_back_len924_factors_2_2_3_7_11_wgs_44_tpt_44_halfLds_sp_op_CI_CI_unitstride_sbrr_dirReg.kd
    .uniform_work_group_size: 1
    .uses_dynamic_stack: false
    .vgpr_count:     121
    .vgpr_spill_count: 0
    .wavefront_size: 64
amdhsa.target:   amdgcn-amd-amdhsa--gfx906
amdhsa.version:
  - 1
  - 2
...

	.end_amdgpu_metadata
